;; amdgpu-corpus repo=ROCm/rocFFT kind=compiled arch=gfx950 opt=O3
	.text
	.amdgcn_target "amdgcn-amd-amdhsa--gfx950"
	.amdhsa_code_object_version 6
	.protected	bluestein_single_back_len224_dim1_dp_op_CI_CI ; -- Begin function bluestein_single_back_len224_dim1_dp_op_CI_CI
	.globl	bluestein_single_back_len224_dim1_dp_op_CI_CI
	.p2align	8
	.type	bluestein_single_back_len224_dim1_dp_op_CI_CI,@function
bluestein_single_back_len224_dim1_dp_op_CI_CI: ; @bluestein_single_back_len224_dim1_dp_op_CI_CI
; %bb.0:
	s_load_dwordx4 s[12:15], s[0:1], 0x28
	v_lshrrev_b32_e32 v1, 4, v0
	v_lshl_or_b32 v254, s2, 2, v1
	v_mov_b32_e32 v255, 0
	s_waitcnt lgkmcnt(0)
	v_cmp_gt_u64_e32 vcc, s[12:13], v[254:255]
	s_and_saveexec_b64 s[2:3], vcc
	s_cbranch_execz .LBB0_2
; %bb.1:
	s_load_dwordx4 s[4:7], s[0:1], 0x0
	s_load_dwordx4 s[8:11], s[0:1], 0x18
	s_load_dwordx2 s[2:3], s[0:1], 0x38
	v_mul_u32_u24_e32 v220, 0xe0, v1
	v_mov_b32_e32 v2, s14
	v_mov_b32_e32 v3, s15
	s_mov_b32 s16, 0xaaaaaaaa
	s_waitcnt lgkmcnt(0)
	v_mov_b32_e32 v4, s2
	v_mov_b32_e32 v5, s3
	s_load_dwordx4 s[0:3], s[10:11], 0x0
	v_accvgpr_write_b32 a0, v4
	v_accvgpr_write_b32 a1, v5
	s_mov_b32 s15, 0xbfe11646
	s_mov_b32 s14, 0xe976ee23
	s_waitcnt lgkmcnt(0)
	v_mad_u64_u32 v[6:7], s[10:11], s2, v254, 0
	s_load_dwordx4 s[8:11], s[8:9], 0x0
	v_mov_b32_e32 v4, v7
	v_mad_u64_u32 v[4:5], s[2:3], s3, v254, v[4:5]
	v_mov_b32_e32 v7, v4
	v_accvgpr_write_b32 a15, v7
	s_waitcnt lgkmcnt(0)
	v_mad_u64_u32 v[4:5], s[2:3], s10, v254, 0
	v_accvgpr_write_b32 a14, v6
	v_mov_b32_e32 v6, v5
	v_mad_u64_u32 v[6:7], s[2:3], s11, v254, v[6:7]
	v_and_b32_e32 v254, 15, v0
	v_mad_u64_u32 v[0:1], s[10:11], s8, v254, 0
	v_mov_b32_e32 v5, v6
	v_mov_b32_e32 v6, v1
	v_mad_u64_u32 v[6:7], s[10:11], s9, v254, v[6:7]
	v_mov_b32_e32 v1, v6
	v_lshl_add_u64 v[2:3], v[4:5], 4, v[2:3]
	v_lshl_add_u64 v[0:1], v[0:1], 4, v[2:3]
	v_lshlrev_b32_e32 v252, 4, v254
	global_load_dwordx4 v[4:7], v[0:1], off
	global_load_dwordx4 v[28:31], v252, s[4:5]
	v_or_b32_e32 v2, v220, v254
	s_add_u32 s2, s4, 0xe00
	v_lshlrev_b32_e32 v16, 4, v2
	s_addc_u32 s3, s5, 0
	s_lshl_b64 s[10:11], s[8:9], 9
	v_lshl_add_u64 v[0:1], v[0:1], 0, s[10:11]
	v_lshl_or_b32 v18, v220, 4, v252
	s_mulk_i32 s9, 0xf500
	s_mov_b32 s17, 0xbff2aaaa
	s_mov_b32 s18, 0x5476071b
	;; [unrolled: 1-line block ×12, first 2 shown]
	v_or_b32_e32 v172, 16, v254
	v_mov_b32_e32 v188, 4
	v_mul_lo_u16_e32 v150, 37, v172
	v_or_b32_e32 v154, 32, v254
	v_mul_lo_u16_e32 v155, 37, v154
	v_or_b32_e32 v200, 48, v254
	;; [unrolled: 2-line block ×5, first 2 shown]
	v_mul_lo_u16_e32 v192, 0x93, v189
	v_cmp_gt_u32_e32 vcc, 14, v254
	v_mov_b32_e32 v173, v255
	v_mov_b32_e32 v201, v255
	s_waitcnt vmcnt(0)
	v_mul_f64 v[8:9], v[6:7], v[30:31]
	v_mul_f64 v[2:3], v[4:5], v[30:31]
	v_fmac_f64_e32 v[8:9], v[4:5], v[28:29]
	v_fma_f64 v[10:11], v[6:7], v[28:29], -v[2:3]
	ds_write_b128 v16, v[8:11]
	global_load_dwordx4 v[4:7], v[0:1], off
	global_load_dwordx4 v[32:35], v252, s[4:5] offset:512
	v_lshl_add_u64 v[0:1], v[0:1], 0, s[10:11]
	s_waitcnt vmcnt(0)
	v_mul_f64 v[8:9], v[6:7], v[34:35]
	v_mul_f64 v[2:3], v[4:5], v[34:35]
	v_fmac_f64_e32 v[8:9], v[4:5], v[32:33]
	v_fma_f64 v[10:11], v[6:7], v[32:33], -v[2:3]
	ds_write_b128 v18, v[8:11] offset:512
	global_load_dwordx4 v[4:7], v[0:1], off
	global_load_dwordx4 v[36:39], v252, s[4:5] offset:1024
	v_lshl_add_u64 v[0:1], v[0:1], 0, s[10:11]
	s_waitcnt vmcnt(0)
	v_mul_f64 v[8:9], v[6:7], v[38:39]
	v_mul_f64 v[2:3], v[4:5], v[38:39]
	v_fmac_f64_e32 v[8:9], v[4:5], v[36:37]
	v_fma_f64 v[10:11], v[6:7], v[36:37], -v[2:3]
	ds_write_b128 v18, v[8:11] offset:1024
	;; [unrolled: 9-line block ×5, first 2 shown]
	global_load_dwordx4 v[4:7], v[0:1], off
	global_load_dwordx4 v[52:55], v252, s[4:5] offset:3072
	s_waitcnt vmcnt(0)
	v_mul_f64 v[2:3], v[4:5], v[54:55]
	v_mul_f64 v[8:9], v[6:7], v[54:55]
	v_fma_f64 v[10:11], v[6:7], v[52:53], -v[2:3]
	v_mov_b32_e32 v2, 0xfffff500
	v_fmac_f64_e32 v[8:9], v[4:5], v[52:53]
	v_mad_u64_u32 v[0:1], s[12:13], s8, v2, v[0:1]
	s_sub_i32 s8, s9, s8
	ds_write_b128 v18, v[8:11] offset:3072
	v_add_u32_e32 v1, s8, v1
	global_load_dwordx4 v[4:7], v[0:1], off
	global_load_dwordx4 v[24:27], v252, s[4:5] offset:256
	v_lshl_add_u64 v[0:1], v[0:1], 0, s[10:11]
	s_mov_b32 s8, 0x36b3c0b5
	s_mov_b32 s9, 0x3fac98ee
	;; [unrolled: 1-line block ×5, first 2 shown]
	s_waitcnt vmcnt(0)
	v_mul_f64 v[8:9], v[6:7], v[26:27]
	v_mul_f64 v[2:3], v[4:5], v[26:27]
	v_fmac_f64_e32 v[8:9], v[4:5], v[24:25]
	v_fma_f64 v[10:11], v[6:7], v[24:25], -v[2:3]
	ds_write_b128 v18, v[8:11] offset:256
	global_load_dwordx4 v[4:7], v[0:1], off
	global_load_dwordx4 v[12:15], v252, s[4:5] offset:768
	v_lshl_add_u64 v[0:1], v[0:1], 0, s[10:11]
	s_waitcnt vmcnt(0)
	v_mul_f64 v[8:9], v[6:7], v[14:15]
	v_mul_f64 v[2:3], v[4:5], v[14:15]
	v_fmac_f64_e32 v[8:9], v[4:5], v[12:13]
	v_fma_f64 v[10:11], v[6:7], v[12:13], -v[2:3]
	v_accvgpr_write_b32 a23, v15
	ds_write_b128 v18, v[8:11] offset:768
	v_accvgpr_write_b32 a22, v14
	v_accvgpr_write_b32 a21, v13
	;; [unrolled: 1-line block ×3, first 2 shown]
	global_load_dwordx4 v[4:7], v[0:1], off
	global_load_dwordx4 v[12:15], v252, s[4:5] offset:1280
	v_lshl_add_u64 v[0:1], v[0:1], 0, s[10:11]
	s_waitcnt vmcnt(0)
	v_mul_f64 v[8:9], v[6:7], v[14:15]
	v_mul_f64 v[2:3], v[4:5], v[14:15]
	v_fmac_f64_e32 v[8:9], v[4:5], v[12:13]
	v_fma_f64 v[10:11], v[6:7], v[12:13], -v[2:3]
	v_accvgpr_write_b32 a19, v15
	ds_write_b128 v18, v[8:11] offset:1280
	v_accvgpr_write_b32 a18, v14
	v_accvgpr_write_b32 a17, v13
	;; [unrolled: 1-line block ×3, first 2 shown]
	global_load_dwordx4 v[4:7], v[0:1], off
	global_load_dwordx4 v[12:15], v252, s[4:5] offset:1792
	v_lshl_add_u64 v[0:1], v[0:1], 0, s[10:11]
	s_waitcnt vmcnt(0)
	v_mul_f64 v[8:9], v[6:7], v[14:15]
	v_mul_f64 v[2:3], v[4:5], v[14:15]
	v_fmac_f64_e32 v[8:9], v[4:5], v[12:13]
	v_fma_f64 v[10:11], v[6:7], v[12:13], -v[2:3]
	ds_write_b128 v18, v[8:11] offset:1792
	global_load_dwordx4 v[4:7], v[0:1], off
	global_load_dwordx4 v[8:11], v252, s[4:5] offset:2304
	v_lshl_add_u64 v[0:1], v[0:1], 0, s[10:11]
	v_accvgpr_write_b32 a10, v12
	v_accvgpr_write_b32 a11, v13
	;; [unrolled: 1-line block ×4, first 2 shown]
	v_lshrrev_b16_e32 v12, 10, v194
	s_waitcnt vmcnt(0)
	v_mul_f64 v[56:57], v[6:7], v[10:11]
	v_mul_f64 v[2:3], v[4:5], v[10:11]
	v_fmac_f64_e32 v[56:57], v[4:5], v[8:9]
	v_fma_f64 v[58:59], v[6:7], v[8:9], -v[2:3]
	ds_write_b128 v18, v[56:59] offset:2304
	global_load_dwordx4 v[56:59], v[0:1], off
	global_load_dwordx4 v[4:7], v252, s[4:5] offset:2816
	v_lshl_add_u64 v[0:1], v[0:1], 0, s[10:11]
	s_mov_b32 s10, 0x37e14327
	s_mov_b32 s11, 0x3fe948f6
	v_accvgpr_write_b32 a6, v8
	v_accvgpr_write_b32 a7, v9
	;; [unrolled: 1-line block ×4, first 2 shown]
	v_lshrrev_b16_e32 v8, 8, v155
	v_lshrrev_b16_e32 v10, 8, v195
	s_waitcnt vmcnt(0)
	v_mul_f64 v[60:61], v[58:59], v[6:7]
	v_mul_f64 v[2:3], v[56:57], v[6:7]
	v_fmac_f64_e32 v[60:61], v[56:57], v[4:5]
	v_fma_f64 v[62:63], v[58:59], v[4:5], -v[2:3]
	v_accvgpr_write_b32 a2, v4
	ds_write_b128 v18, v[60:63] offset:2816
	v_accvgpr_write_b32 a3, v5
	v_accvgpr_write_b32 a4, v6
	;; [unrolled: 1-line block ×3, first 2 shown]
	global_load_dwordx4 v[56:59], v[0:1], off
	global_load_dwordx4 v[2:5], v252, s[4:5] offset:3328
	v_lshrrev_b16_e32 v6, 8, v150
	s_waitcnt vmcnt(0)
	v_mul_f64 v[60:61], v[58:59], v[4:5]
	v_mul_f64 v[0:1], v[56:57], v[4:5]
	v_fmac_f64_e32 v[60:61], v[56:57], v[2:3]
	v_fma_f64 v[62:63], v[58:59], v[2:3], -v[0:1]
	v_accvgpr_write_b32 a27, v5
	ds_write_b128 v18, v[60:63] offset:3328
	s_waitcnt lgkmcnt(0)
	; wave barrier
	s_waitcnt lgkmcnt(0)
	ds_read_b128 v[60:63], v16
	ds_read_b128 v[64:67], v18 offset:512
	ds_read_b128 v[68:71], v18 offset:1024
	;; [unrolled: 1-line block ×13, first 2 shown]
	v_accvgpr_write_b32 a26, v4
	v_accvgpr_write_b32 a25, v3
	v_accvgpr_write_b32 a24, v2
	s_waitcnt lgkmcnt(7)
	v_add_f64 v[0:1], v[64:65], v[84:85]
	v_add_f64 v[2:3], v[66:67], v[86:87]
	v_add_f64 v[14:15], v[64:65], -v[84:85]
	v_add_f64 v[64:65], v[66:67], -v[86:87]
	v_add_f64 v[66:67], v[68:69], v[80:81]
	v_add_f64 v[84:85], v[70:71], v[82:83]
	v_add_f64 v[68:69], v[68:69], -v[80:81]
	v_add_f64 v[80:81], v[72:73], v[76:77]
	v_add_f64 v[72:73], v[76:77], -v[72:73]
	;; [unrolled: 2-line block ×4, first 2 shown]
	v_add_f64 v[78:79], v[84:85], v[2:3]
	v_add_f64 v[76:77], v[80:81], v[76:77]
	;; [unrolled: 1-line block ×4, first 2 shown]
	v_add_f64 v[86:87], v[66:67], -v[0:1]
	v_add_f64 v[112:113], v[84:85], -v[2:3]
	;; [unrolled: 1-line block ×6, first 2 shown]
	v_add_f64 v[114:115], v[72:73], v[68:69]
	v_add_f64 v[116:117], v[74:75], v[70:71]
	v_add_f64 v[118:119], v[72:73], -v[68:69]
	v_add_f64 v[120:121], v[74:75], -v[70:71]
	v_add_f64 v[62:63], v[62:63], v[78:79]
	v_mov_b64_e32 v[122:123], v[60:61]
	v_add_f64 v[72:73], v[14:15], -v[72:73]
	v_add_f64 v[74:75], v[64:65], -v[74:75]
	;; [unrolled: 1-line block ×4, first 2 shown]
	v_add_f64 v[14:15], v[114:115], v[14:15]
	v_add_f64 v[64:65], v[116:117], v[64:65]
	v_mul_f64 v[0:1], v[0:1], s[10:11]
	v_mul_f64 v[2:3], v[2:3], s[10:11]
	;; [unrolled: 1-line block ×6, first 2 shown]
	v_fmac_f64_e32 v[122:123], s[16:17], v[76:77]
	v_mov_b64_e32 v[76:77], v[62:63]
	v_mul_f64 v[118:119], v[68:69], s[12:13]
	v_mul_f64 v[120:121], v[70:71], s[12:13]
	v_fmac_f64_e32 v[76:77], s[16:17], v[78:79]
	v_fma_f64 v[78:79], v[86:87], s[18:19], -v[80:81]
	v_fma_f64 v[80:81], v[112:113], s[18:19], -v[82:83]
	;; [unrolled: 1-line block ×3, first 2 shown]
	v_fmac_f64_e32 v[0:1], s[8:9], v[66:67]
	v_fma_f64 v[66:67], v[112:113], s[20:21], -v[2:3]
	v_fmac_f64_e32 v[2:3], s[8:9], v[84:85]
	v_fma_f64 v[84:85], v[68:69], s[28:29], -v[114:115]
	;; [unrolled: 2-line block ×3, first 2 shown]
	v_fmac_f64_e32 v[116:117], s[22:23], v[74:75]
	v_fmac_f64_e32 v[118:119], s[26:27], v[72:73]
	;; [unrolled: 1-line block ×3, first 2 shown]
	v_add_f64 v[0:1], v[0:1], v[122:123]
	v_add_f64 v[2:3], v[2:3], v[76:77]
	;; [unrolled: 1-line block ×4, first 2 shown]
	v_fmac_f64_e32 v[114:115], s[24:25], v[14:15]
	v_fmac_f64_e32 v[116:117], s[24:25], v[64:65]
	v_fmac_f64_e32 v[84:85], s[24:25], v[14:15]
	v_fmac_f64_e32 v[86:87], s[24:25], v[64:65]
	v_add_f64 v[112:113], v[66:67], v[76:77]
	v_fmac_f64_e32 v[118:119], s[24:25], v[14:15]
	v_fmac_f64_e32 v[120:121], s[24:25], v[64:65]
	v_add_f64 v[64:65], v[0:1], v[116:117]
	v_add_f64 v[66:67], v[2:3], -v[114:115]
	v_add_f64 v[72:73], v[78:79], -v[86:87]
	v_add_f64 v[74:75], v[84:85], v[80:81]
	v_add_f64 v[76:77], v[78:79], v[86:87]
	v_add_f64 v[78:79], v[80:81], -v[84:85]
	v_add_f64 v[84:85], v[0:1], -v[116:117]
	v_add_f64 v[86:87], v[114:115], v[2:3]
	s_waitcnt lgkmcnt(0)
	v_add_f64 v[0:1], v[88:89], v[108:109]
	v_add_f64 v[2:3], v[90:91], v[110:111]
	v_add_f64 v[14:15], v[88:89], -v[108:109]
	v_add_f64 v[88:89], v[90:91], -v[110:111]
	v_add_f64 v[90:91], v[92:93], v[104:105]
	v_add_f64 v[108:109], v[94:95], v[106:107]
	v_add_f64 v[92:93], v[92:93], -v[104:105]
	v_add_f64 v[104:105], v[96:97], v[100:101]
	v_add_f64 v[96:97], v[100:101], -v[96:97]
	;; [unrolled: 2-line block ×4, first 2 shown]
	v_add_f64 v[102:103], v[108:109], v[2:3]
	v_add_f64 v[100:101], v[104:105], v[100:101]
	;; [unrolled: 1-line block ×6, first 2 shown]
	v_add_f64 v[70:71], v[112:113], -v[118:119]
	v_add_f64 v[80:81], v[82:83], -v[120:121]
	v_add_f64 v[82:83], v[118:119], v[112:113]
	v_add_f64 v[110:111], v[90:91], -v[0:1]
	v_add_f64 v[112:113], v[108:109], -v[2:3]
	;; [unrolled: 1-line block ×6, first 2 shown]
	v_add_f64 v[114:115], v[96:97], v[92:93]
	v_add_f64 v[116:117], v[98:99], v[94:95]
	v_add_f64 v[118:119], v[96:97], -v[92:93]
	v_add_f64 v[120:121], v[98:99], -v[94:95]
	v_add_f64 v[58:59], v[58:59], v[102:103]
	v_mov_b64_e32 v[122:123], v[56:57]
	v_add_f64 v[96:97], v[14:15], -v[96:97]
	v_add_f64 v[98:99], v[88:89], -v[98:99]
	v_add_f64 v[92:93], v[92:93], -v[14:15]
	v_add_f64 v[94:95], v[94:95], -v[88:89]
	v_add_f64 v[14:15], v[114:115], v[14:15]
	v_add_f64 v[88:89], v[116:117], v[88:89]
	v_mul_f64 v[0:1], v[0:1], s[10:11]
	v_mul_f64 v[2:3], v[2:3], s[10:11]
	;; [unrolled: 1-line block ×6, first 2 shown]
	v_fmac_f64_e32 v[122:123], s[16:17], v[100:101]
	v_mov_b64_e32 v[100:101], v[58:59]
	v_mul_f64 v[120:121], v[94:95], s[12:13]
	v_fmac_f64_e32 v[100:101], s[16:17], v[102:103]
	v_fma_f64 v[102:103], v[110:111], s[18:19], -v[104:105]
	v_fma_f64 v[104:105], v[112:113], s[18:19], -v[106:107]
	;; [unrolled: 1-line block ×3, first 2 shown]
	v_fmac_f64_e32 v[0:1], s[8:9], v[90:91]
	v_fma_f64 v[90:91], v[112:113], s[20:21], -v[2:3]
	v_fmac_f64_e32 v[2:3], s[8:9], v[108:109]
	v_fma_f64 v[108:109], v[92:93], s[28:29], -v[114:115]
	v_fma_f64 v[110:111], v[94:95], s[28:29], -v[116:117]
	v_fmac_f64_e32 v[116:117], s[22:23], v[98:99]
	v_mul_f64 v[118:119], v[92:93], s[12:13]
	v_fmac_f64_e32 v[120:121], s[26:27], v[98:99]
	v_add_f64 v[0:1], v[0:1], v[122:123]
	v_add_f64 v[102:103], v[102:103], v[122:123]
	;; [unrolled: 1-line block ×3, first 2 shown]
	v_fmac_f64_e32 v[116:117], s[24:25], v[88:89]
	v_fmac_f64_e32 v[108:109], s[24:25], v[14:15]
	;; [unrolled: 1-line block ×5, first 2 shown]
	v_add_f64 v[2:3], v[2:3], v[100:101]
	v_add_f64 v[112:113], v[90:91], v[100:101]
	v_fmac_f64_e32 v[120:121], s[24:25], v[88:89]
	v_add_f64 v[88:89], v[0:1], v[116:117]
	v_add_f64 v[96:97], v[102:103], -v[110:111]
	v_add_f64 v[98:99], v[108:109], v[104:105]
	v_add_f64 v[100:101], v[102:103], v[110:111]
	v_add_f64 v[102:103], v[104:105], -v[108:109]
	v_add_f64 v[108:109], v[0:1], -v[116:117]
	v_mul_u32_u24_e32 v0, 7, v254
	v_add_lshl_u32 v19, v220, v0, 4
	v_mul_u32_u24_e32 v0, 7, v172
	v_add_lshl_u32 v17, v220, v0, 4
	v_mul_lo_u16_e32 v0, 37, v254
	v_lshrrev_b16_e32 v4, 8, v0
	v_mul_lo_u16_e32 v0, 7, v4
	v_add_f64 v[106:107], v[106:107], v[122:123]
	v_fmac_f64_e32 v[114:115], s[24:25], v[14:15]
	v_fmac_f64_e32 v[118:119], s[24:25], v[14:15]
	v_sub_u16_e32 v5, v254, v0
	v_add_f64 v[90:91], v[2:3], -v[114:115]
	v_add_f64 v[92:93], v[106:107], v[120:121]
	v_add_f64 v[94:95], v[112:113], -v[118:119]
	v_add_f64 v[104:105], v[106:107], -v[120:121]
	v_add_f64 v[106:107], v[118:119], v[112:113]
	v_add_f64 v[110:111], v[114:115], v[2:3]
	v_lshlrev_b32_sdwa v0, v188, v5 dst_sel:DWORD dst_unused:UNUSED_PAD src0_sel:DWORD src1_sel:BYTE_0
	s_waitcnt lgkmcnt(0)
	; wave barrier
	ds_write_b128 v19, v[60:63]
	ds_write_b128 v19, v[64:67] offset:16
	ds_write_b128 v19, v[68:71] offset:32
	;; [unrolled: 1-line block ×6, first 2 shown]
	ds_write_b128 v17, v[56:59]
	ds_write_b128 v17, v[88:91] offset:16
	ds_write_b128 v17, v[92:95] offset:32
	;; [unrolled: 1-line block ×6, first 2 shown]
	s_waitcnt lgkmcnt(0)
	; wave barrier
	s_waitcnt lgkmcnt(0)
	ds_read_b128 v[108:111], v16
	ds_read_b128 v[60:63], v18 offset:1792
	ds_read_b128 v[104:107], v18 offset:256
	;; [unrolled: 1-line block ×13, first 2 shown]
	global_load_dwordx4 v[56:59], v0, s[6:7]
	v_lshrrev_b16_e32 v14, 10, v193
	v_mul_lo_u16_e32 v15, 7, v14
	v_sub_u16_e32 v15, v190, v15
	v_lshlrev_b32_sdwa v20, v188, v15 dst_sel:DWORD dst_unused:UNUSED_PAD src0_sel:DWORD src1_sel:BYTE_0
	s_mov_b32 s15, 0x3fe11646
	s_mov_b32 s25, 0xbfdc38aa
	s_waitcnt vmcnt(0) lgkmcnt(12)
	v_mul_f64 v[0:1], v[62:63], v[58:59]
	v_fma_f64 v[118:119], v[60:61], v[56:57], -v[0:1]
	v_mul_lo_u16_e32 v0, 7, v6
	v_sub_u16_e32 v7, v172, v0
	v_mul_f64 v[116:117], v[60:61], v[58:59]
	v_lshlrev_b32_sdwa v0, v188, v7 dst_sel:DWORD dst_unused:UNUSED_PAD src0_sel:DWORD src1_sel:BYTE_0
	v_fmac_f64_e32 v[116:117], v[62:63], v[56:57]
	global_load_dwordx4 v[60:63], v0, s[6:7]
	s_waitcnt vmcnt(0) lgkmcnt(10)
	v_mul_f64 v[0:1], v[66:67], v[62:63]
	v_fma_f64 v[122:123], v[64:65], v[60:61], -v[0:1]
	v_mul_lo_u16_e32 v0, 7, v8
	v_sub_u16_e32 v9, v154, v0
	v_mul_f64 v[120:121], v[64:65], v[62:63]
	v_lshlrev_b32_sdwa v0, v188, v9 dst_sel:DWORD dst_unused:UNUSED_PAD src0_sel:DWORD src1_sel:BYTE_0
	v_fmac_f64_e32 v[120:121], v[66:67], v[60:61]
	global_load_dwordx4 v[64:67], v0, s[6:7]
	;; [unrolled: 9-line block ×4, first 2 shown]
	s_waitcnt vmcnt(0) lgkmcnt(4)
	v_mul_f64 v[0:1], v[78:79], v[74:75]
	v_mul_f64 v[2:3], v[76:77], v[74:75]
	v_fma_f64 v[0:1], v[76:77], v[72:73], -v[0:1]
	v_fmac_f64_e32 v[2:3], v[78:79], v[72:73]
	global_load_dwordx4 v[76:79], v20, s[6:7]
	v_lshrrev_b16_e32 v20, 10, v192
	v_mul_lo_u16_e32 v21, 7, v20
	v_sub_u16_e32 v21, v189, v21
	v_lshlrev_b32_sdwa v22, v188, v21 dst_sel:DWORD dst_unused:UNUSED_PAD src0_sel:DWORD src1_sel:BYTE_0
	s_waitcnt vmcnt(0) lgkmcnt(2)
	v_mul_f64 v[132:133], v[82:83], v[78:79]
	v_mul_f64 v[134:135], v[80:81], v[78:79]
	v_fma_f64 v[132:133], v[80:81], v[76:77], -v[132:133]
	v_fmac_f64_e32 v[134:135], v[82:83], v[76:77]
	global_load_dwordx4 v[80:83], v22, s[6:7]
	s_waitcnt lgkmcnt(0)
	; wave barrier
	s_waitcnt lgkmcnt(0)
	v_add_f64 v[132:133], v[88:89], -v[132:133]
	v_add_f64 v[134:135], v[90:91], -v[134:135]
	v_fma_f64 v[88:89], v[88:89], 2.0, -v[132:133]
	v_fma_f64 v[90:91], v[90:91], 2.0, -v[134:135]
	s_waitcnt vmcnt(0)
	v_mul_f64 v[136:137], v[114:115], v[82:83]
	v_fma_f64 v[136:137], v[112:113], v[80:81], -v[136:137]
	v_mul_f64 v[138:139], v[112:113], v[82:83]
	v_add_f64 v[112:113], v[108:109], -v[118:119]
	v_add_f64 v[118:119], v[106:107], -v[120:121]
	;; [unrolled: 1-line block ×5, first 2 shown]
	v_mad_legacy_u16 v0, v4, 14, v5
	v_fmac_f64_e32 v[138:139], v[114:115], v[80:81]
	v_add_f64 v[114:115], v[110:111], -v[116:117]
	v_and_b32_e32 v0, 0xff, v0
	v_fma_f64 v[108:109], v[108:109], 2.0, -v[112:113]
	v_fma_f64 v[110:111], v[110:111], 2.0, -v[114:115]
	v_add_lshl_u32 v0, v220, v0, 4
	ds_write_b128 v0, v[108:111]
	ds_write_b128 v0, v[112:115] offset:112
	v_accvgpr_write_b32 a34, v0
	v_mad_legacy_u16 v0, v6, 14, v7
	v_add_f64 v[116:117], v[104:105], -v[122:123]
	v_and_b32_e32 v0, 0xff, v0
	v_fma_f64 v[104:105], v[104:105], 2.0, -v[116:117]
	v_fma_f64 v[106:107], v[106:107], 2.0, -v[118:119]
	v_add_lshl_u32 v0, v220, v0, 4
	ds_write_b128 v0, v[104:107]
	ds_write_b128 v0, v[116:119] offset:112
	v_accvgpr_write_b32 a33, v0
	v_mad_legacy_u16 v0, v8, 14, v9
	;; [unrolled: 9-line block ×3, first 2 shown]
	v_add_f64 v[124:125], v[96:97], -v[130:131]
	v_and_b32_e32 v0, 0xff, v0
	v_fma_f64 v[96:97], v[96:97], 2.0, -v[124:125]
	v_fma_f64 v[98:99], v[98:99], 2.0, -v[126:127]
	v_add_lshl_u32 v0, v220, v0, 4
	ds_write_b128 v0, v[96:99]
	ds_write_b128 v0, v[124:127] offset:112
	v_accvgpr_write_b32 a31, v0
	v_mul_lo_u16_e32 v0, 14, v12
	v_add_f64 v[130:131], v[94:95], -v[2:3]
	v_add_u32_sdwa v0, v0, v13 dst_sel:DWORD dst_unused:UNUSED_PAD src0_sel:DWORD src1_sel:BYTE_0
	v_fma_f64 v[92:93], v[92:93], 2.0, -v[128:129]
	v_fma_f64 v[94:95], v[94:95], 2.0, -v[130:131]
	v_add_lshl_u32 v0, v220, v0, 4
	ds_write_b128 v0, v[92:95]
	ds_write_b128 v0, v[128:131] offset:112
	v_accvgpr_write_b32 a30, v0
	v_mul_lo_u16_e32 v0, 14, v14
	v_add_u32_sdwa v0, v0, v15 dst_sel:DWORD dst_unused:UNUSED_PAD src0_sel:DWORD src1_sel:BYTE_0
	v_add_lshl_u32 v0, v220, v0, 4
	ds_write_b128 v0, v[88:91]
	ds_write_b128 v0, v[132:135] offset:112
	v_accvgpr_write_b32 a29, v0
	v_mul_lo_u16_e32 v0, 14, v20
	v_add_f64 v[136:137], v[84:85], -v[136:137]
	v_add_f64 v[138:139], v[86:87], -v[138:139]
	v_add_u32_sdwa v0, v0, v21 dst_sel:DWORD dst_unused:UNUSED_PAD src0_sel:DWORD src1_sel:BYTE_0
	v_fma_f64 v[84:85], v[84:85], 2.0, -v[136:137]
	v_fma_f64 v[86:87], v[86:87], 2.0, -v[138:139]
	v_add_lshl_u32 v0, v220, v0, 4
	ds_write_b128 v0, v[84:87]
	ds_write_b128 v0, v[136:139] offset:112
	v_accvgpr_write_b32 a28, v0
	v_lshl_add_u64 v[0:1], v[254:255], 0, -14
	v_cndmask_b32_e64 v145, v1, 0, vcc
	v_cndmask_b32_e32 v144, v0, v254, vcc
	v_lshl_add_u64 v[0:1], v[144:145], 4, s[6:7]
	s_waitcnt lgkmcnt(0)
	; wave barrier
	s_waitcnt lgkmcnt(0)
	ds_read_b128 v[136:139], v16
	ds_read_b128 v[88:91], v18 offset:1792
	ds_read_b128 v[132:135], v18 offset:256
	;; [unrolled: 1-line block ×13, first 2 shown]
	global_load_dwordx4 v[84:87], v[0:1], off offset:112
	v_lshrrev_b16_e32 v4, 9, v150
	v_lshrrev_b16_e32 v6, 9, v155
	;; [unrolled: 1-line block ×4, first 2 shown]
	v_mul_lo_u16_e32 v11, 14, v10
	v_sub_u16_e32 v11, v191, v11
	v_lshlrev_b32_sdwa v12, v188, v11 dst_sel:DWORD dst_unused:UNUSED_PAD src0_sel:DWORD src1_sel:BYTE_0
	v_cmp_lt_u32_e32 vcc, 13, v254
	s_waitcnt vmcnt(0) lgkmcnt(12)
	v_mul_f64 v[0:1], v[90:91], v[86:87]
	v_fma_f64 v[148:149], v[88:89], v[84:85], -v[0:1]
	v_mul_lo_u16_e32 v0, 14, v4
	v_sub_u16_e32 v5, v172, v0
	v_mul_f64 v[146:147], v[88:89], v[86:87]
	v_lshlrev_b32_sdwa v0, v188, v5 dst_sel:DWORD dst_unused:UNUSED_PAD src0_sel:DWORD src1_sel:BYTE_0
	v_fmac_f64_e32 v[146:147], v[90:91], v[84:85]
	global_load_dwordx4 v[88:91], v0, s[6:7] offset:112
	s_waitcnt vmcnt(0) lgkmcnt(10)
	v_mul_f64 v[0:1], v[94:95], v[90:91]
	v_fma_f64 v[152:153], v[92:93], v[88:89], -v[0:1]
	v_mul_lo_u16_e32 v0, 14, v6
	v_sub_u16_e32 v7, v154, v0
	v_mul_f64 v[150:151], v[92:93], v[90:91]
	v_lshlrev_b32_sdwa v0, v188, v7 dst_sel:DWORD dst_unused:UNUSED_PAD src0_sel:DWORD src1_sel:BYTE_0
	v_fmac_f64_e32 v[150:151], v[94:95], v[88:89]
	global_load_dwordx4 v[92:95], v0, s[6:7] offset:112
	s_waitcnt vmcnt(0) lgkmcnt(8)
	v_mul_f64 v[0:1], v[98:99], v[94:95]
	v_fma_f64 v[156:157], v[96:97], v[92:93], -v[0:1]
	v_mul_lo_u16_e32 v0, 14, v8
	v_sub_u16_e32 v9, v200, v0
	v_mul_f64 v[154:155], v[96:97], v[94:95]
	v_lshlrev_b32_sdwa v0, v188, v9 dst_sel:DWORD dst_unused:UNUSED_PAD src0_sel:DWORD src1_sel:BYTE_0
	v_fmac_f64_e32 v[154:155], v[98:99], v[92:93]
	global_load_dwordx4 v[96:99], v0, s[6:7] offset:112
	s_waitcnt vmcnt(0) lgkmcnt(6)
	v_mul_f64 v[0:1], v[106:107], v[98:99]
	v_mul_f64 v[2:3], v[104:105], v[98:99]
	v_fma_f64 v[0:1], v[104:105], v[96:97], -v[0:1]
	v_fmac_f64_e32 v[2:3], v[106:107], v[96:97]
	global_load_dwordx4 v[104:107], v12, s[6:7] offset:112
	v_lshrrev_b16_e32 v12, 11, v193
	v_mul_lo_u16_e32 v13, 14, v12
	v_sub_u16_e32 v13, v190, v13
	v_lshlrev_b32_sdwa v14, v188, v13 dst_sel:DWORD dst_unused:UNUSED_PAD src0_sel:DWORD src1_sel:BYTE_0
	s_waitcnt vmcnt(0) lgkmcnt(4)
	v_mul_f64 v[158:159], v[110:111], v[106:107]
	v_mul_f64 v[160:161], v[108:109], v[106:107]
	v_fma_f64 v[158:159], v[108:109], v[104:105], -v[158:159]
	v_fmac_f64_e32 v[160:161], v[110:111], v[104:105]
	global_load_dwordx4 v[108:111], v14, s[6:7] offset:112
	v_lshrrev_b16_e32 v14, 11, v192
	v_mul_lo_u16_e32 v15, 14, v14
	v_sub_u16_e32 v15, v189, v15
	v_lshlrev_b32_sdwa v20, v188, v15 dst_sel:DWORD dst_unused:UNUSED_PAD src0_sel:DWORD src1_sel:BYTE_0
	v_add_f64 v[158:159], v[120:121], -v[158:159]
	v_add_f64 v[160:161], v[122:123], -v[160:161]
	v_fma_f64 v[120:121], v[120:121], 2.0, -v[158:159]
	v_fma_f64 v[122:123], v[122:123], 2.0, -v[160:161]
	s_waitcnt vmcnt(0) lgkmcnt(2)
	v_mul_f64 v[162:163], v[114:115], v[110:111]
	v_mul_f64 v[164:165], v[112:113], v[110:111]
	v_fma_f64 v[162:163], v[112:113], v[108:109], -v[162:163]
	v_fmac_f64_e32 v[164:165], v[114:115], v[108:109]
	global_load_dwordx4 v[112:115], v20, s[6:7] offset:112
	s_waitcnt lgkmcnt(0)
	; wave barrier
	s_waitcnt lgkmcnt(0)
	v_add_f64 v[162:163], v[116:117], -v[162:163]
	v_add_f64 v[164:165], v[118:119], -v[164:165]
	v_fma_f64 v[116:117], v[116:117], 2.0, -v[162:163]
	v_fma_f64 v[118:119], v[118:119], 2.0, -v[164:165]
	s_waitcnt vmcnt(0)
	v_mul_f64 v[168:169], v[140:141], v[114:115]
	v_mul_f64 v[166:167], v[142:143], v[114:115]
	v_fmac_f64_e32 v[168:169], v[142:143], v[112:113]
	v_add_f64 v[142:143], v[138:139], -v[146:147]
	v_add_f64 v[146:147], v[132:133], -v[152:153]
	;; [unrolled: 1-line block ×4, first 2 shown]
	v_cndmask_b32_e64 v0, 0, 28, vcc
	v_fma_f64 v[166:167], v[140:141], v[112:113], -v[166:167]
	v_add_f64 v[140:141], v[136:137], -v[148:149]
	v_add_u32_e32 v0, v144, v0
	v_fma_f64 v[136:137], v[136:137], 2.0, -v[140:141]
	v_fma_f64 v[138:139], v[138:139], 2.0, -v[142:143]
	v_add_lshl_u32 v0, v220, v0, 4
	ds_write_b128 v0, v[136:139]
	ds_write_b128 v0, v[140:143] offset:224
	v_accvgpr_write_b32 a41, v0
	v_mad_legacy_u16 v0, v4, 28, v5
	v_add_f64 v[148:149], v[134:135], -v[150:151]
	v_and_b32_e32 v0, 0xff, v0
	v_fma_f64 v[132:133], v[132:133], 2.0, -v[146:147]
	v_fma_f64 v[134:135], v[134:135], 2.0, -v[148:149]
	v_add_lshl_u32 v0, v220, v0, 4
	ds_write_b128 v0, v[132:135]
	ds_write_b128 v0, v[146:149] offset:224
	v_accvgpr_write_b32 a40, v0
	v_mad_legacy_u16 v0, v6, 28, v7
	v_add_f64 v[150:151], v[128:129], -v[156:157]
	v_and_b32_e32 v0, 0xff, v0
	;; [unrolled: 9-line block ×3, first 2 shown]
	v_fma_f64 v[124:125], v[124:125], 2.0, -v[154:155]
	v_fma_f64 v[126:127], v[126:127], 2.0, -v[156:157]
	v_add_lshl_u32 v0, v220, v0, 4
	ds_write_b128 v0, v[124:127]
	ds_write_b128 v0, v[154:157] offset:224
	v_accvgpr_write_b32 a38, v0
	v_mul_lo_u16_e32 v0, 28, v10
	v_add_u32_sdwa v0, v0, v11 dst_sel:DWORD dst_unused:UNUSED_PAD src0_sel:DWORD src1_sel:BYTE_0
	v_add_lshl_u32 v0, v220, v0, 4
	ds_write_b128 v0, v[120:123]
	ds_write_b128 v0, v[158:161] offset:224
	v_accvgpr_write_b32 a37, v0
	v_mul_lo_u16_e32 v0, 28, v12
	v_add_u32_sdwa v0, v0, v13 dst_sel:DWORD dst_unused:UNUSED_PAD src0_sel:DWORD src1_sel:BYTE_0
	v_add_lshl_u32 v0, v220, v0, 4
	ds_write_b128 v0, v[116:119]
	ds_write_b128 v0, v[162:165] offset:224
	v_accvgpr_write_b32 a36, v0
	v_mul_lo_u16_e32 v0, 28, v14
	v_add_f64 v[166:167], v[100:101], -v[166:167]
	v_add_f64 v[168:169], v[102:103], -v[168:169]
	v_add_u32_sdwa v0, v0, v15 dst_sel:DWORD dst_unused:UNUSED_PAD src0_sel:DWORD src1_sel:BYTE_0
	v_fma_f64 v[100:101], v[100:101], 2.0, -v[166:167]
	v_fma_f64 v[102:103], v[102:103], 2.0, -v[168:169]
	v_add_lshl_u32 v0, v220, v0, 4
	ds_write_b128 v0, v[100:103]
	ds_write_b128 v0, v[166:169] offset:224
	s_waitcnt lgkmcnt(0)
	; wave barrier
	s_waitcnt lgkmcnt(0)
	ds_read_b128 v[164:167], v16
	ds_read_b128 v[116:119], v18 offset:1792
	ds_read_b128 v[160:163], v18 offset:256
	;; [unrolled: 1-line block ×13, first 2 shown]
	global_load_dwordx4 v[100:103], v252, s[6:7] offset:336
	v_accvgpr_write_b32 a35, v0
	v_cmp_gt_u64_e32 vcc, 28, v[172:173]
	v_lshrrev_b16_e32 v4, 10, v195
	v_lshrrev_b16_e32 v6, 12, v194
	v_mul_lo_u16_e32 v6, 28, v6
	v_sub_u16_e32 v6, v191, v6
	v_and_b32_e32 v6, 0xff, v6
	v_lshlrev_b32_e32 v7, 4, v6
	s_waitcnt vmcnt(0) lgkmcnt(12)
	v_mul_f64 v[0:1], v[118:119], v[102:103]
	v_fma_f64 v[176:177], v[116:117], v[100:101], -v[0:1]
	v_lshl_add_u64 v[0:1], v[254:255], 0, -12
	v_cndmask_b32_e32 v178, v0, v172, vcc
	v_cndmask_b32_e64 v179, v1, 0, vcc
	v_mul_f64 v[174:175], v[116:117], v[102:103]
	v_lshl_add_u64 v[0:1], v[178:179], 4, s[6:7]
	v_fmac_f64_e32 v[174:175], v[118:119], v[100:101]
	global_load_dwordx4 v[116:119], v[0:1], off offset:336
	v_cmp_lt_u64_e32 vcc, 27, v[172:173]
	s_waitcnt vmcnt(0) lgkmcnt(10)
	v_mul_f64 v[0:1], v[122:123], v[118:119]
	v_mul_f64 v[180:181], v[120:121], v[118:119]
	v_fma_f64 v[182:183], v[120:121], v[116:117], -v[0:1]
	v_fmac_f64_e32 v[180:181], v[122:123], v[116:117]
	global_load_dwordx4 v[120:123], v252, s[6:7] offset:400
	s_waitcnt vmcnt(0) lgkmcnt(8)
	v_mul_f64 v[0:1], v[126:127], v[122:123]
	v_fma_f64 v[186:187], v[124:125], v[120:121], -v[0:1]
	v_mul_lo_u16_e32 v0, 28, v4
	v_sub_u16_e32 v5, v200, v0
	v_mul_f64 v[184:185], v[124:125], v[122:123]
	v_lshlrev_b32_sdwa v0, v188, v5 dst_sel:DWORD dst_unused:UNUSED_PAD src0_sel:DWORD src1_sel:BYTE_0
	v_fmac_f64_e32 v[184:185], v[126:127], v[120:121]
	global_load_dwordx4 v[124:127], v0, s[6:7] offset:336
	s_waitcnt vmcnt(0) lgkmcnt(6)
	v_mul_f64 v[0:1], v[130:131], v[126:127]
	v_mul_f64 v[2:3], v[128:129], v[126:127]
	v_fma_f64 v[0:1], v[128:129], v[124:125], -v[0:1]
	v_fmac_f64_e32 v[2:3], v[130:131], v[124:125]
	global_load_dwordx4 v[128:131], v7, s[6:7] offset:336
	v_lshrrev_b16_e32 v7, 12, v193
	v_mul_lo_u16_e32 v8, 28, v7
	v_sub_u16_e32 v8, v190, v8
	v_lshlrev_b32_sdwa v9, v188, v8 dst_sel:DWORD dst_unused:UNUSED_PAD src0_sel:DWORD src1_sel:BYTE_0
	s_waitcnt vmcnt(0) lgkmcnt(4)
	v_mul_f64 v[194:195], v[134:135], v[130:131]
	v_mul_f64 v[196:197], v[132:133], v[130:131]
	v_fma_f64 v[194:195], v[132:133], v[128:129], -v[194:195]
	v_fmac_f64_e32 v[196:197], v[134:135], v[128:129]
	global_load_dwordx4 v[132:135], v9, s[6:7] offset:336
	v_lshrrev_b16_e32 v9, 12, v192
	v_mul_lo_u16_e32 v9, 28, v9
	v_sub_u16_e32 v9, v189, v9
	v_and_b32_e32 v9, 0xff, v9
	v_lshlrev_b32_e32 v10, 4, v9
	s_waitcnt vmcnt(0) lgkmcnt(2)
	v_mul_f64 v[190:191], v[138:139], v[134:135]
	v_mul_f64 v[202:203], v[136:137], v[134:135]
	v_fma_f64 v[198:199], v[136:137], v[132:133], -v[190:191]
	v_fmac_f64_e32 v[202:203], v[138:139], v[132:133]
	global_load_dwordx4 v[136:139], v10, s[6:7] offset:336
	s_waitcnt lgkmcnt(0)
	; wave barrier
	s_waitcnt lgkmcnt(0)
	v_add_f64 v[190:191], v[150:151], -v[196:197]
	v_fma_f64 v[150:151], v[150:151], 2.0, -v[190:191]
	v_add_f64 v[192:193], v[144:145], -v[198:199]
	v_fma_f64 v[144:145], v[144:145], 2.0, -v[192:193]
	s_waitcnt vmcnt(0)
	v_mul_f64 v[206:207], v[168:169], v[138:139]
	v_mul_f64 v[188:189], v[170:171], v[138:139]
	v_fmac_f64_e32 v[206:207], v[170:171], v[136:137]
	v_add_f64 v[170:171], v[166:167], -v[174:175]
	v_add_f64 v[174:175], v[160:161], -v[182:183]
	;; [unrolled: 1-line block ×4, first 2 shown]
	v_cndmask_b32_e64 v0, 0, 56, vcc
	v_fma_f64 v[204:205], v[168:169], v[136:137], -v[188:189]
	v_add_f64 v[168:169], v[164:165], -v[176:177]
	v_add_f64 v[176:177], v[162:163], -v[180:181]
	v_add_u32_e32 v0, v0, v178
	v_fma_f64 v[164:165], v[164:165], 2.0, -v[168:169]
	v_fma_f64 v[166:167], v[166:167], 2.0, -v[170:171]
	;; [unrolled: 1-line block ×4, first 2 shown]
	v_add_lshl_u32 v0, v220, v0, 4
	ds_write_b128 v16, v[164:167]
	ds_write_b128 v16, v[168:171] offset:448
	ds_write_b128 v0, v[160:163]
	ds_write_b128 v0, v[174:177] offset:448
	v_accvgpr_write_b32 a46, v0
	v_mad_legacy_u16 v0, v4, 56, v5
	v_add_f64 v[180:181], v[156:157], -v[186:187]
	v_add_f64 v[186:187], v[154:155], -v[2:3]
	v_and_b32_e32 v0, 0xff, v0
	v_fma_f64 v[156:157], v[156:157], 2.0, -v[180:181]
	v_fma_f64 v[158:159], v[158:159], 2.0, -v[182:183]
	;; [unrolled: 1-line block ×4, first 2 shown]
	v_add_f64 v[188:189], v[148:149], -v[194:195]
	v_add_lshl_u32 v0, v220, v0, 4
	v_fma_f64 v[148:149], v[148:149], 2.0, -v[188:189]
	ds_write_b128 v16, v[156:159] offset:960
	ds_write_b128 v16, v[180:183] offset:1408
	ds_write_b128 v0, v[152:155]
	ds_write_b128 v0, v[184:187] offset:448
	v_accvgpr_write_b32 a42, v0
	v_add_lshl_u32 v0, v220, v6, 4
	ds_write_b128 v0, v[148:151] offset:1792
	ds_write_b128 v0, v[188:191] offset:2240
	v_accvgpr_write_b32 a43, v0
	v_mul_lo_u16_e32 v0, 56, v7
	v_add_f64 v[194:195], v[146:147], -v[202:203]
	v_add_u32_sdwa v0, v0, v8 dst_sel:DWORD dst_unused:UNUSED_PAD src0_sel:DWORD src1_sel:BYTE_0
	v_fma_f64 v[146:147], v[146:147], 2.0, -v[194:195]
	v_add_f64 v[196:197], v[140:141], -v[204:205]
	v_add_f64 v[198:199], v[142:143], -v[206:207]
	v_add_lshl_u32 v0, v220, v0, 4
	v_fma_f64 v[140:141], v[140:141], 2.0, -v[196:197]
	v_fma_f64 v[142:143], v[142:143], 2.0, -v[198:199]
	ds_write_b128 v0, v[144:147]
	ds_write_b128 v0, v[192:195] offset:448
	v_accvgpr_write_b32 a44, v0
	v_add_lshl_u32 v0, v220, v9, 4
	ds_write_b128 v0, v[140:143] offset:2688
	ds_write_b128 v0, v[196:199] offset:3136
	s_waitcnt lgkmcnt(0)
	; wave barrier
	s_waitcnt lgkmcnt(0)
	ds_read_b128 v[192:195], v16
	ds_read_b128 v[144:147], v18 offset:1792
	ds_read_b128 v[188:191], v18 offset:256
	;; [unrolled: 1-line block ×13, first 2 shown]
	global_load_dwordx4 v[140:143], v252, s[6:7] offset:784
	v_accvgpr_write_b32 a45, v0
	v_cmp_gt_u64_e32 vcc, 56, v[200:201]
	s_waitcnt vmcnt(0) lgkmcnt(12)
	v_mul_f64 v[0:1], v[146:147], v[142:143]
	v_mul_f64 v[206:207], v[144:145], v[142:143]
	v_fma_f64 v[212:213], v[144:145], v[140:141], -v[0:1]
	v_fmac_f64_e32 v[206:207], v[146:147], v[140:141]
	global_load_dwordx4 v[144:147], v252, s[6:7] offset:1040
	s_waitcnt vmcnt(0) lgkmcnt(10)
	v_mul_f64 v[0:1], v[150:151], v[146:147]
	v_mul_f64 v[208:209], v[148:149], v[146:147]
	v_fma_f64 v[214:215], v[148:149], v[144:145], -v[0:1]
	v_fmac_f64_e32 v[208:209], v[150:151], v[144:145]
	global_load_dwordx4 v[148:151], v252, s[6:7] offset:1296
	v_add_f64 v[208:209], v[190:191], -v[208:209]
	v_fma_f64 v[190:191], v[190:191], 2.0, -v[208:209]
	s_waitcnt vmcnt(0) lgkmcnt(8)
	v_mul_f64 v[0:1], v[154:155], v[150:151]
	v_fma_f64 v[210:211], v[152:153], v[148:149], -v[0:1]
	v_lshl_add_u64 v[0:1], v[254:255], 0, -8
	v_cndmask_b32_e32 v202, v0, v200, vcc
	v_cndmask_b32_e64 v203, v1, 0, vcc
	v_mul_f64 v[204:205], v[152:153], v[150:151]
	v_lshl_add_u64 v[0:1], v[202:203], 4, s[6:7]
	v_fmac_f64_e32 v[204:205], v[154:155], v[148:149]
	global_load_dwordx4 v[152:155], v[0:1], off offset:784
	v_cmp_lt_u64_e32 vcc, 55, v[200:201]
	v_add_f64 v[210:211], v[184:185], -v[210:211]
	v_fma_f64 v[184:185], v[184:185], 2.0, -v[210:211]
	s_waitcnt vmcnt(0) lgkmcnt(6)
	v_mul_f64 v[0:1], v[158:159], v[154:155]
	v_mul_f64 v[216:217], v[156:157], v[154:155]
	v_fma_f64 v[218:219], v[156:157], v[152:153], -v[0:1]
	v_fmac_f64_e32 v[216:217], v[158:159], v[152:153]
	global_load_dwordx4 v[156:159], v252, s[6:7] offset:912
	v_add_f64 v[216:217], v[182:183], -v[216:217]
	v_fma_f64 v[182:183], v[182:183], 2.0, -v[216:217]
	s_waitcnt vmcnt(0) lgkmcnt(4)
	v_mul_f64 v[0:1], v[162:163], v[158:159]
	v_mul_f64 v[2:3], v[160:161], v[158:159]
	v_fma_f64 v[0:1], v[160:161], v[156:157], -v[0:1]
	v_fmac_f64_e32 v[2:3], v[162:163], v[156:157]
	global_load_dwordx4 v[160:163], v252, s[6:7] offset:1168
	v_add_f64 v[224:225], v[178:179], -v[2:3]
	v_fma_f64 v[178:179], v[178:179], 2.0, -v[224:225]
	s_waitcnt vmcnt(0) lgkmcnt(2)
	v_mul_f64 v[222:223], v[166:167], v[162:163]
	v_mul_f64 v[232:233], v[164:165], v[162:163]
	v_fma_f64 v[226:227], v[164:165], v[160:161], -v[222:223]
	v_fmac_f64_e32 v[232:233], v[166:167], v[160:161]
	global_load_dwordx4 v[164:167], v252, s[6:7] offset:1424
	v_add_f64 v[230:231], v[172:173], -v[226:227]
	v_add_f64 v[232:233], v[174:175], -v[232:233]
	v_fma_f64 v[172:173], v[172:173], 2.0, -v[230:231]
	v_fma_f64 v[174:175], v[174:175], 2.0, -v[232:233]
	s_waitcnt lgkmcnt(0)
	; wave barrier
	s_waitcnt vmcnt(0) lgkmcnt(0)
	v_mul_f64 v[222:223], v[198:199], v[166:167]
	v_fma_f64 v[234:235], v[196:197], v[164:165], -v[222:223]
	v_mul_f64 v[236:237], v[196:197], v[166:167]
	v_add_f64 v[222:223], v[176:177], -v[0:1]
	v_mov_b32_e32 v0, 0x70
	v_fmac_f64_e32 v[236:237], v[198:199], v[164:165]
	v_cndmask_b32_e32 v0, 0, v0, vcc
	v_add_f64 v[196:197], v[192:193], -v[212:213]
	v_add_f64 v[198:199], v[194:195], -v[206:207]
	;; [unrolled: 1-line block ×7, first 2 shown]
	v_add_u32_e32 v0, v0, v202
	v_fma_f64 v[192:193], v[192:193], 2.0, -v[196:197]
	v_fma_f64 v[194:195], v[194:195], 2.0, -v[198:199]
	;; [unrolled: 1-line block ×8, first 2 shown]
	v_add_lshl_u32 v255, v220, v0, 4
	ds_write_b128 v16, v[192:195]
	ds_write_b128 v16, v[196:199] offset:896
	ds_write_b128 v18, v[188:191] offset:256
	;; [unrolled: 1-line block ×5, first 2 shown]
	ds_write_b128 v255, v[180:183]
	ds_write_b128 v255, v[214:217] offset:896
	ds_write_b128 v16, v[176:179] offset:1920
	;; [unrolled: 1-line block ×7, first 2 shown]
	s_waitcnt lgkmcnt(0)
	; wave barrier
	s_waitcnt lgkmcnt(0)
	ds_read_b128 v[220:223], v16
	ds_read_b128 v[172:175], v18 offset:1792
	ds_read_b128 v[216:219], v18 offset:256
	;; [unrolled: 1-line block ×13, first 2 shown]
	global_load_dwordx4 v[168:171], v252, s[6:7] offset:1680
	s_waitcnt vmcnt(0) lgkmcnt(12)
	v_mul_f64 v[0:1], v[174:175], v[170:171]
	v_mul_f64 v[2:3], v[172:173], v[170:171]
	v_fma_f64 v[0:1], v[172:173], v[168:169], -v[0:1]
	v_fmac_f64_e32 v[2:3], v[174:175], v[168:169]
	global_load_dwordx4 v[172:175], v252, s[6:7] offset:1936
	s_waitcnt vmcnt(0) lgkmcnt(10)
	v_mul_f64 v[230:231], v[178:179], v[174:175]
	v_mul_f64 v[232:233], v[176:177], v[174:175]
	v_fma_f64 v[230:231], v[176:177], v[172:173], -v[230:231]
	v_fmac_f64_e32 v[232:233], v[178:179], v[172:173]
	global_load_dwordx4 v[176:179], v252, s[6:7] offset:2192
	v_add_f64 v[230:231], v[216:217], -v[230:231]
	v_add_f64 v[232:233], v[218:219], -v[232:233]
	v_fma_f64 v[216:217], v[216:217], 2.0, -v[230:231]
	v_fma_f64 v[218:219], v[218:219], 2.0, -v[232:233]
	s_waitcnt vmcnt(0) lgkmcnt(8)
	v_mul_f64 v[234:235], v[182:183], v[178:179]
	v_mul_f64 v[236:237], v[180:181], v[178:179]
	v_fma_f64 v[234:235], v[180:181], v[176:177], -v[234:235]
	v_fmac_f64_e32 v[236:237], v[182:183], v[176:177]
	global_load_dwordx4 v[180:183], v252, s[6:7] offset:2448
	v_add_f64 v[234:235], v[212:213], -v[234:235]
	v_add_f64 v[236:237], v[214:215], -v[236:237]
	v_fma_f64 v[212:213], v[212:213], 2.0, -v[234:235]
	v_fma_f64 v[214:215], v[214:215], 2.0, -v[236:237]
	;; [unrolled: 10-line block ×5, first 2 shown]
	s_waitcnt vmcnt(0) lgkmcnt(0)
	v_mul_f64 v[250:251], v[226:227], v[194:195]
	v_mul_f64 v[228:229], v[224:225], v[194:195]
	v_fma_f64 v[250:251], v[224:225], v[192:193], -v[250:251]
	v_fmac_f64_e32 v[228:229], v[226:227], v[192:193]
	v_add_f64 v[224:225], v[220:221], -v[0:1]
	v_add_f64 v[226:227], v[222:223], -v[2:3]
	;; [unrolled: 1-line block ×4, first 2 shown]
	v_fma_f64 v[220:221], v[220:221], 2.0, -v[224:225]
	v_fma_f64 v[222:223], v[222:223], 2.0, -v[226:227]
	;; [unrolled: 1-line block ×4, first 2 shown]
	ds_write_b128 v16, v[220:223]
	ds_write_b128 v18, v[224:227] offset:1792
	ds_write_b128 v18, v[216:219] offset:256
	ds_write_b128 v18, v[230:233] offset:2048
	ds_write_b128 v18, v[212:215] offset:512
	ds_write_b128 v18, v[234:237] offset:2304
	ds_write_b128 v18, v[208:211] offset:768
	ds_write_b128 v18, v[238:241] offset:2560
	ds_write_b128 v18, v[204:207] offset:1024
	ds_write_b128 v18, v[242:245] offset:2816
	ds_write_b128 v18, v[200:203] offset:1280
	ds_write_b128 v18, v[246:249] offset:3072
	ds_write_b128 v18, v[196:199] offset:1536
	ds_write_b128 v18, v[0:3] offset:3328
	s_waitcnt lgkmcnt(0)
	; wave barrier
	s_waitcnt lgkmcnt(0)
	global_load_dwordx4 v[196:199], v252, s[4:5] offset:3584
	ds_read_b128 v[0:3], v16
	s_waitcnt vmcnt(0) lgkmcnt(0)
	v_mul_f64 v[200:201], v[2:3], v[198:199]
	v_mul_f64 v[202:203], v[0:1], v[198:199]
	v_fma_f64 v[200:201], v[0:1], v[196:197], -v[200:201]
	v_fmac_f64_e32 v[202:203], v[2:3], v[196:197]
	global_load_dwordx4 v[196:199], v252, s[2:3] offset:512
	ds_write_b128 v16, v[200:203]
	ds_read_b128 v[0:3], v18 offset:512
	s_waitcnt vmcnt(0) lgkmcnt(0)
	v_mul_f64 v[200:201], v[2:3], v[198:199]
	v_mul_f64 v[202:203], v[0:1], v[198:199]
	v_fma_f64 v[200:201], v[0:1], v[196:197], -v[200:201]
	v_fmac_f64_e32 v[202:203], v[2:3], v[196:197]
	global_load_dwordx4 v[196:199], v252, s[2:3] offset:1024
	ds_read_b128 v[0:3], v18 offset:1024
	ds_write_b128 v18, v[200:203] offset:512
	s_waitcnt vmcnt(0) lgkmcnt(1)
	v_mul_f64 v[200:201], v[2:3], v[198:199]
	v_mul_f64 v[202:203], v[0:1], v[198:199]
	v_fma_f64 v[200:201], v[0:1], v[196:197], -v[200:201]
	v_fmac_f64_e32 v[202:203], v[2:3], v[196:197]
	global_load_dwordx4 v[196:199], v252, s[2:3] offset:1536
	ds_read_b128 v[0:3], v18 offset:1536
	ds_write_b128 v18, v[200:203] offset:1024
	;; [unrolled: 8-line block ×12, first 2 shown]
	s_mov_b32 s2, 0x92492492
	s_mov_b32 s3, 0x3f724924
	s_waitcnt vmcnt(0) lgkmcnt(1)
	v_mul_f64 v[200:201], v[198:199], v[2:3]
	v_mul_f64 v[202:203], v[196:197], v[2:3]
	v_fma_f64 v[200:201], v[196:197], v[0:1], -v[200:201]
	v_fmac_f64_e32 v[202:203], v[198:199], v[0:1]
	ds_write_b128 v18, v[200:203] offset:3328
	s_waitcnt lgkmcnt(0)
	; wave barrier
	s_waitcnt lgkmcnt(0)
	ds_read_b128 v[10:13], v16
	ds_read_b128 v[196:199], v18 offset:512
	ds_read_b128 v[200:203], v18 offset:1024
	;; [unrolled: 1-line block ×13, first 2 shown]
	s_waitcnt lgkmcnt(7)
	v_add_f64 v[220:221], v[196:197], v[216:217]
	v_add_f64 v[196:197], v[196:197], -v[216:217]
	v_add_f64 v[216:217], v[200:201], v[212:213]
	v_add_f64 v[222:223], v[198:199], v[218:219]
	v_add_f64 v[198:199], v[198:199], -v[218:219]
	v_add_f64 v[218:219], v[202:203], v[214:215]
	v_add_f64 v[200:201], v[200:201], -v[212:213]
	v_add_f64 v[202:203], v[202:203], -v[214:215]
	v_add_f64 v[212:213], v[204:205], v[208:209]
	v_add_f64 v[214:215], v[206:207], v[210:211]
	v_add_f64 v[204:205], v[208:209], -v[204:205]
	v_add_f64 v[208:209], v[216:217], v[220:221]
	v_add_f64 v[206:207], v[210:211], -v[206:207]
	v_add_f64 v[210:211], v[218:219], v[222:223]
	v_add_f64 v[252:253], v[216:217], -v[220:221]
	v_add_f64 v[2:3], v[218:219], -v[222:223]
	v_add_f64 v[8:9], v[220:221], -v[212:213]
	;; [unrolled: 1-line block ×3, first 2 shown]
	v_add_f64 v[222:223], v[204:205], v[200:201]
	v_add_f64 v[208:209], v[212:213], v[208:209]
	v_add_f64 v[216:217], v[212:213], -v[216:217]
	v_add_f64 v[0:1], v[206:207], v[202:203]
	v_add_f64 v[4:5], v[204:205], -v[200:201]
	v_add_f64 v[204:205], v[196:197], -v[204:205]
	;; [unrolled: 1-line block ×3, first 2 shown]
	v_add_f64 v[210:211], v[214:215], v[210:211]
	v_add_f64 v[212:213], v[222:223], v[196:197]
	;; [unrolled: 1-line block ×3, first 2 shown]
	v_add_f64 v[218:219], v[214:215], -v[218:219]
	v_add_f64 v[6:7], v[206:207], -v[202:203]
	;; [unrolled: 1-line block ×4, first 2 shown]
	v_add_f64 v[0:1], v[0:1], v[198:199]
	v_add_f64 v[198:199], v[12:13], v[210:211]
	v_mov_b64_e32 v[222:223], v[196:197]
	v_mul_f64 v[10:11], v[220:221], s[10:11]
	v_mul_f64 v[12:13], v[216:217], s[8:9]
	;; [unrolled: 1-line block ×5, first 2 shown]
	v_fmac_f64_e32 v[222:223], s[16:17], v[208:209]
	v_mov_b64_e32 v[208:209], v[198:199]
	v_mul_f64 v[8:9], v[8:9], s[10:11]
	v_mul_f64 v[14:15], v[200:201], s[28:29]
	;; [unrolled: 1-line block ×3, first 2 shown]
	v_fmac_f64_e32 v[208:209], s[16:17], v[210:211]
	v_fma_f64 v[12:13], v[252:253], s[18:19], -v[12:13]
	v_fma_f64 v[210:211], v[2:3], s[18:19], -v[214:215]
	;; [unrolled: 1-line block ×3, first 2 shown]
	v_fmac_f64_e32 v[10:11], s[8:9], v[218:219]
	v_fma_f64 v[200:201], v[200:201], s[12:13], -v[4:5]
	v_fmac_f64_e32 v[4:5], s[26:27], v[204:205]
	v_fma_f64 v[202:203], v[202:203], s[12:13], -v[6:7]
	v_fma_f64 v[214:215], v[252:253], s[20:21], -v[8:9]
	v_fmac_f64_e32 v[8:9], s[8:9], v[216:217]
	v_fmac_f64_e32 v[6:7], s[26:27], v[206:207]
	;; [unrolled: 1-line block ×4, first 2 shown]
	v_add_f64 v[10:11], v[10:11], v[208:209]
	v_add_f64 v[12:13], v[12:13], v[222:223]
	v_fmac_f64_e32 v[4:5], s[24:25], v[212:213]
	v_fmac_f64_e32 v[202:203], s[24:25], v[0:1]
	v_add_f64 v[8:9], v[8:9], v[222:223]
	v_add_f64 v[204:205], v[210:211], v[208:209]
	;; [unrolled: 1-line block ×4, first 2 shown]
	v_fmac_f64_e32 v[6:7], s[24:25], v[0:1]
	v_fmac_f64_e32 v[200:201], s[24:25], v[212:213]
	;; [unrolled: 1-line block ×4, first 2 shown]
	v_add_f64 v[22:23], v[10:11], -v[4:5]
	v_add_f64 v[212:213], v[12:13], -v[202:203]
	v_add_f64 v[208:209], v[12:13], v[202:203]
	v_add_f64 v[202:203], v[4:5], v[10:11]
	s_waitcnt lgkmcnt(0)
	v_add_f64 v[4:5], v[244:245], v[248:249]
	v_add_f64 v[12:13], v[236:237], v[240:241]
	;; [unrolled: 1-line block ×4, first 2 shown]
	v_add_f64 v[218:219], v[222:223], -v[14:15]
	v_add_f64 v[214:215], v[200:201], v[204:205]
	v_add_f64 v[210:211], v[204:205], -v[200:201]
	v_add_f64 v[204:205], v[206:207], -v[220:221]
	v_add_f64 v[206:207], v[14:15], v[222:223]
	v_add_f64 v[200:201], v[8:9], -v[6:7]
	v_add_f64 v[6:7], v[246:247], v[250:251]
	v_add_f64 v[14:15], v[238:239], v[242:243]
	v_add_f64 v[220:221], v[236:237], -v[240:241]
	v_add_f64 v[236:237], v[228:229], v[232:233]
	v_add_f64 v[228:229], v[232:233], -v[228:229]
	;; [unrolled: 2-line block ×4, first 2 shown]
	v_add_f64 v[234:235], v[14:15], v[6:7]
	v_add_f64 v[232:233], v[236:237], v[232:233]
	v_add_f64 v[8:9], v[244:245], -v[248:249]
	v_add_f64 v[10:11], v[246:247], -v[250:251]
	v_add_f64 v[246:247], v[230:231], v[222:223]
	v_add_f64 v[234:235], v[238:239], v[234:235]
	;; [unrolled: 1-line block ×3, first 2 shown]
	v_add_f64 v[240:241], v[12:13], -v[4:5]
	v_add_f64 v[242:243], v[14:15], -v[6:7]
	;; [unrolled: 1-line block ×6, first 2 shown]
	v_add_f64 v[244:245], v[228:229], v[220:221]
	v_add_f64 v[248:249], v[228:229], -v[220:221]
	v_add_f64 v[250:251], v[230:231], -v[222:223]
	;; [unrolled: 1-line block ×5, first 2 shown]
	v_add_f64 v[10:11], v[246:247], v[10:11]
	v_add_f64 v[226:227], v[226:227], v[234:235]
	v_mov_b64_e32 v[246:247], v[224:225]
	v_add_f64 v[228:229], v[8:9], -v[228:229]
	v_add_f64 v[8:9], v[244:245], v[8:9]
	v_mul_f64 v[4:5], v[4:5], s[10:11]
	v_mul_f64 v[6:7], v[6:7], s[10:11]
	;; [unrolled: 1-line block ×8, first 2 shown]
	v_fmac_f64_e32 v[246:247], s[16:17], v[232:233]
	v_mov_b64_e32 v[232:233], v[226:227]
	v_fmac_f64_e32 v[232:233], s[16:17], v[234:235]
	v_fma_f64 v[12:13], s[8:9], v[12:13], v[4:5]
	v_fma_f64 v[234:235], v[240:241], s[18:19], -v[236:237]
	v_fma_f64 v[236:237], v[242:243], s[18:19], -v[238:239]
	;; [unrolled: 1-line block ×4, first 2 shown]
	v_fmac_f64_e32 v[6:7], s[8:9], v[14:15]
	v_fma_f64 v[14:15], s[26:27], v[228:229], v[244:245]
	v_fma_f64 v[220:221], v[220:221], s[12:13], -v[244:245]
	v_fma_f64 v[222:223], v[222:223], s[12:13], -v[252:253]
	v_fmac_f64_e32 v[252:253], s[26:27], v[230:231]
	v_fmac_f64_e32 v[0:1], s[22:23], v[228:229]
	;; [unrolled: 1-line block ×3, first 2 shown]
	v_add_f64 v[12:13], v[12:13], v[246:247]
	v_add_f64 v[6:7], v[6:7], v[232:233]
	;; [unrolled: 1-line block ×6, first 2 shown]
	v_fmac_f64_e32 v[14:15], s[24:25], v[8:9]
	v_fmac_f64_e32 v[252:253], s[24:25], v[10:11]
	;; [unrolled: 1-line block ×6, first 2 shown]
	v_add_f64 v[244:245], v[4:5], v[2:3]
	v_add_f64 v[246:247], v[234:235], -v[0:1]
	v_add_f64 v[240:241], v[228:229], -v[222:223]
	v_add_f64 v[242:243], v[220:221], v[230:231]
	v_add_f64 v[236:237], v[228:229], v[222:223]
	v_add_f64 v[238:239], v[230:231], -v[220:221]
	v_add_f64 v[232:233], v[4:5], -v[2:3]
	v_add_f64 v[234:235], v[0:1], v[234:235]
	v_add_f64 v[228:229], v[12:13], -v[252:253]
	v_add_f64 v[230:231], v[14:15], v[6:7]
	v_add_f64 v[248:249], v[12:13], v[252:253]
	v_add_f64 v[250:251], v[6:7], -v[14:15]
	s_waitcnt lgkmcnt(0)
	; wave barrier
	ds_write_b128 v19, v[196:199]
	ds_write_b128 v19, v[20:23] offset:16
	ds_write_b128 v19, v[216:219] offset:32
	;; [unrolled: 1-line block ×6, first 2 shown]
	ds_write_b128 v17, v[224:227]
	ds_write_b128 v17, v[248:251] offset:16
	ds_write_b128 v17, v[244:247] offset:32
	;; [unrolled: 1-line block ×6, first 2 shown]
	s_waitcnt lgkmcnt(0)
	; wave barrier
	s_waitcnt lgkmcnt(0)
	ds_read_b128 v[0:3], v16
	ds_read_b128 v[196:199], v18 offset:1792
	ds_read_b128 v[200:203], v18 offset:256
	;; [unrolled: 1-line block ×13, first 2 shown]
	s_waitcnt lgkmcnt(12)
	v_mul_f64 v[4:5], v[58:59], v[198:199]
	v_mul_f64 v[6:7], v[58:59], v[196:197]
	v_fmac_f64_e32 v[4:5], v[56:57], v[196:197]
	v_fma_f64 v[6:7], v[56:57], v[198:199], -v[6:7]
	s_waitcnt lgkmcnt(4)
	v_mul_f64 v[56:57], v[74:75], v[228:229]
	v_mul_f64 v[10:11], v[62:63], v[204:205]
	v_fma_f64 v[198:199], v[72:73], v[230:231], -v[56:57]
	s_waitcnt lgkmcnt(2)
	v_mul_f64 v[56:57], v[78:79], v[236:237]
	v_mul_f64 v[8:9], v[62:63], v[206:207]
	v_fma_f64 v[10:11], v[60:61], v[206:207], -v[10:11]
	v_mul_f64 v[14:15], v[66:67], v[212:213]
	v_fma_f64 v[206:207], v[76:77], v[238:239], -v[56:57]
	s_waitcnt lgkmcnt(0)
	v_mul_f64 v[56:57], v[82:83], v[244:245]
	v_fmac_f64_e32 v[8:9], v[60:61], v[204:205]
	v_mul_f64 v[12:13], v[66:67], v[214:215]
	v_fma_f64 v[14:15], v[64:65], v[214:215], -v[14:15]
	v_fma_f64 v[214:215], v[80:81], v[246:247], -v[56:57]
	v_add_f64 v[56:57], v[0:1], -v[4:5]
	v_add_f64 v[58:59], v[2:3], -v[6:7]
	v_fmac_f64_e32 v[12:13], v[64:65], v[212:213]
	v_mul_f64 v[20:21], v[70:71], v[222:223]
	v_mul_f64 v[22:23], v[70:71], v[220:221]
	v_fma_f64 v[0:1], v[0:1], 2.0, -v[56:57]
	v_fma_f64 v[2:3], v[2:3], 2.0, -v[58:59]
	v_add_f64 v[60:61], v[200:201], -v[8:9]
	v_add_f64 v[62:63], v[202:203], -v[10:11]
	v_accvgpr_read_b32 v4, a34
	v_fmac_f64_e32 v[20:21], v[68:69], v[220:221]
	v_fma_f64 v[22:23], v[68:69], v[222:223], -v[22:23]
	v_mul_f64 v[196:197], v[74:75], v[230:231]
	v_mul_f64 v[204:205], v[78:79], v[238:239]
	v_fma_f64 v[64:65], v[200:201], 2.0, -v[60:61]
	v_fma_f64 v[66:67], v[202:203], 2.0, -v[62:63]
	v_add_f64 v[68:69], v[208:209], -v[12:13]
	v_add_f64 v[70:71], v[210:211], -v[14:15]
	s_waitcnt lgkmcnt(0)
	; wave barrier
	ds_write_b128 v4, v[0:3]
	ds_write_b128 v4, v[56:59] offset:112
	v_accvgpr_read_b32 v0, a33
	v_fmac_f64_e32 v[196:197], v[72:73], v[228:229]
	v_fmac_f64_e32 v[204:205], v[76:77], v[236:237]
	v_mul_f64 v[212:213], v[82:83], v[246:247]
	v_fma_f64 v[72:73], v[208:209], 2.0, -v[68:69]
	v_fma_f64 v[74:75], v[210:211], 2.0, -v[70:71]
	v_add_f64 v[76:77], v[216:217], -v[20:21]
	v_add_f64 v[78:79], v[218:219], -v[22:23]
	ds_write_b128 v0, v[64:67]
	ds_write_b128 v0, v[60:63] offset:112
	v_accvgpr_read_b32 v0, a32
	v_fmac_f64_e32 v[212:213], v[80:81], v[244:245]
	v_fma_f64 v[80:81], v[216:217], 2.0, -v[76:77]
	v_fma_f64 v[82:83], v[218:219], 2.0, -v[78:79]
	v_add_f64 v[196:197], v[224:225], -v[196:197]
	v_add_f64 v[198:199], v[226:227], -v[198:199]
	ds_write_b128 v0, v[72:75]
	ds_write_b128 v0, v[68:71] offset:112
	v_accvgpr_read_b32 v0, a31
	v_fma_f64 v[200:201], v[224:225], 2.0, -v[196:197]
	v_fma_f64 v[202:203], v[226:227], 2.0, -v[198:199]
	v_add_f64 v[204:205], v[232:233], -v[204:205]
	v_add_f64 v[206:207], v[234:235], -v[206:207]
	ds_write_b128 v0, v[80:83]
	ds_write_b128 v0, v[76:79] offset:112
	v_accvgpr_read_b32 v0, a30
	;; [unrolled: 7-line block ×3, first 2 shown]
	v_fma_f64 v[216:217], v[240:241], 2.0, -v[212:213]
	v_fma_f64 v[218:219], v[242:243], 2.0, -v[214:215]
	ds_write_b128 v0, v[208:211]
	ds_write_b128 v0, v[204:207] offset:112
	v_accvgpr_read_b32 v0, a28
	ds_write_b128 v0, v[216:219]
	ds_write_b128 v0, v[212:215] offset:112
	s_waitcnt lgkmcnt(0)
	; wave barrier
	s_waitcnt lgkmcnt(0)
	ds_read_b128 v[0:3], v16
	ds_read_b128 v[56:59], v18 offset:1792
	ds_read_b128 v[60:63], v18 offset:256
	;; [unrolled: 1-line block ×13, first 2 shown]
	s_waitcnt lgkmcnt(12)
	v_mul_f64 v[4:5], v[86:87], v[58:59]
	v_fmac_f64_e32 v[4:5], v[84:85], v[56:57]
	v_mul_f64 v[6:7], v[86:87], v[56:57]
	s_waitcnt lgkmcnt(4)
	v_mul_f64 v[56:57], v[106:107], v[200:201]
	v_fma_f64 v[86:87], v[104:105], v[202:203], -v[56:57]
	s_waitcnt lgkmcnt(2)
	v_mul_f64 v[56:57], v[110:111], v[208:209]
	v_fma_f64 v[6:7], v[84:85], v[58:59], -v[6:7]
	v_mul_f64 v[8:9], v[90:91], v[66:67]
	v_mul_f64 v[10:11], v[90:91], v[64:65]
	;; [unrolled: 1-line block ×4, first 2 shown]
	v_fma_f64 v[94:95], v[108:109], v[210:211], -v[56:57]
	s_waitcnt lgkmcnt(0)
	v_mul_f64 v[56:57], v[114:115], v[216:217]
	v_fmac_f64_e32 v[8:9], v[88:89], v[64:65]
	v_fma_f64 v[10:11], v[88:89], v[66:67], -v[10:11]
	v_mul_f64 v[84:85], v[106:107], v[202:203]
	v_fma_f64 v[106:107], v[112:113], v[218:219], -v[56:57]
	v_add_f64 v[56:57], v[0:1], -v[4:5]
	v_add_f64 v[58:59], v[2:3], -v[6:7]
	v_fmac_f64_e32 v[12:13], v[92:93], v[72:73]
	v_fma_f64 v[14:15], v[92:93], v[74:75], -v[14:15]
	v_mul_f64 v[20:21], v[98:99], v[82:83]
	v_mul_f64 v[22:23], v[98:99], v[80:81]
	v_fma_f64 v[0:1], v[0:1], 2.0, -v[56:57]
	v_fma_f64 v[2:3], v[2:3], 2.0, -v[58:59]
	v_add_f64 v[64:65], v[60:61], -v[8:9]
	v_add_f64 v[66:67], v[62:63], -v[10:11]
	v_accvgpr_read_b32 v4, a41
	v_fmac_f64_e32 v[20:21], v[96:97], v[80:81]
	v_fma_f64 v[22:23], v[96:97], v[82:83], -v[22:23]
	v_fma_f64 v[60:61], v[60:61], 2.0, -v[64:65]
	v_fma_f64 v[62:63], v[62:63], 2.0, -v[66:67]
	v_add_f64 v[72:73], v[68:69], -v[12:13]
	v_add_f64 v[74:75], v[70:71], -v[14:15]
	s_waitcnt lgkmcnt(0)
	; wave barrier
	ds_write_b128 v4, v[0:3]
	ds_write_b128 v4, v[56:59] offset:224
	v_accvgpr_read_b32 v0, a40
	v_fmac_f64_e32 v[84:85], v[104:105], v[200:201]
	v_mul_f64 v[92:93], v[110:111], v[210:211]
	v_fma_f64 v[68:69], v[68:69], 2.0, -v[72:73]
	v_fma_f64 v[70:71], v[70:71], 2.0, -v[74:75]
	v_add_f64 v[80:81], v[76:77], -v[20:21]
	v_add_f64 v[82:83], v[78:79], -v[22:23]
	ds_write_b128 v0, v[60:63]
	ds_write_b128 v0, v[64:67] offset:224
	v_accvgpr_read_b32 v0, a39
	v_fmac_f64_e32 v[92:93], v[108:109], v[208:209]
	v_mul_f64 v[104:105], v[114:115], v[218:219]
	v_fma_f64 v[76:77], v[76:77], 2.0, -v[80:81]
	v_fma_f64 v[78:79], v[78:79], 2.0, -v[82:83]
	v_add_f64 v[84:85], v[196:197], -v[84:85]
	v_add_f64 v[86:87], v[198:199], -v[86:87]
	ds_write_b128 v0, v[68:71]
	ds_write_b128 v0, v[72:75] offset:224
	v_accvgpr_read_b32 v0, a38
	v_fmac_f64_e32 v[104:105], v[112:113], v[216:217]
	v_fma_f64 v[88:89], v[196:197], 2.0, -v[84:85]
	v_fma_f64 v[90:91], v[198:199], 2.0, -v[86:87]
	v_add_f64 v[92:93], v[204:205], -v[92:93]
	v_add_f64 v[94:95], v[206:207], -v[94:95]
	ds_write_b128 v0, v[76:79]
	ds_write_b128 v0, v[80:83] offset:224
	v_accvgpr_read_b32 v0, a37
	v_fma_f64 v[96:97], v[204:205], 2.0, -v[92:93]
	v_fma_f64 v[98:99], v[206:207], 2.0, -v[94:95]
	v_add_f64 v[104:105], v[212:213], -v[104:105]
	v_add_f64 v[106:107], v[214:215], -v[106:107]
	ds_write_b128 v0, v[88:91]
	ds_write_b128 v0, v[84:87] offset:224
	v_accvgpr_read_b32 v0, a36
	v_fma_f64 v[108:109], v[212:213], 2.0, -v[104:105]
	v_fma_f64 v[110:111], v[214:215], 2.0, -v[106:107]
	ds_write_b128 v0, v[96:99]
	ds_write_b128 v0, v[92:95] offset:224
	v_accvgpr_read_b32 v0, a35
	ds_write_b128 v0, v[108:111]
	ds_write_b128 v0, v[104:107] offset:224
	s_waitcnt lgkmcnt(0)
	; wave barrier
	s_waitcnt lgkmcnt(0)
	ds_read_b128 v[0:3], v16
	ds_read_b128 v[56:59], v18 offset:1792
	ds_read_b128 v[60:63], v18 offset:256
	ds_read_b128 v[64:67], v18 offset:2048
	ds_read_b128 v[68:71], v18 offset:512
	ds_read_b128 v[72:75], v18 offset:2304
	ds_read_b128 v[76:79], v18 offset:768
	ds_read_b128 v[80:83], v18 offset:2560
	ds_read_b128 v[84:87], v18 offset:1024
	ds_read_b128 v[88:91], v18 offset:2816
	ds_read_b128 v[92:95], v18 offset:1280
	ds_read_b128 v[96:99], v18 offset:3072
	ds_read_b128 v[104:107], v18 offset:1536
	ds_read_b128 v[108:111], v18 offset:3328
	s_waitcnt lgkmcnt(12)
	v_mul_f64 v[4:5], v[102:103], v[58:59]
	v_fmac_f64_e32 v[4:5], v[100:101], v[56:57]
	v_mul_f64 v[6:7], v[102:103], v[56:57]
	s_waitcnt lgkmcnt(4)
	v_mul_f64 v[56:57], v[130:131], v[88:89]
	v_fma_f64 v[6:7], v[100:101], v[58:59], -v[6:7]
	v_mul_f64 v[100:101], v[130:131], v[90:91]
	v_fma_f64 v[90:91], v[128:129], v[90:91], -v[56:57]
	s_waitcnt lgkmcnt(2)
	v_mul_f64 v[56:57], v[134:135], v[96:97]
	v_mul_f64 v[8:9], v[118:119], v[66:67]
	;; [unrolled: 1-line block ×4, first 2 shown]
	v_fma_f64 v[98:99], v[132:133], v[98:99], -v[56:57]
	s_waitcnt lgkmcnt(0)
	v_mul_f64 v[112:113], v[138:139], v[110:111]
	v_mul_f64 v[56:57], v[138:139], v[108:109]
	v_fmac_f64_e32 v[8:9], v[116:117], v[64:65]
	v_fma_f64 v[10:11], v[116:117], v[66:67], -v[10:11]
	v_mul_f64 v[12:13], v[122:123], v[74:75]
	v_mul_f64 v[14:15], v[122:123], v[72:73]
	;; [unrolled: 1-line block ×4, first 2 shown]
	v_fmac_f64_e32 v[112:113], v[136:137], v[108:109]
	v_fma_f64 v[108:109], v[136:137], v[110:111], -v[56:57]
	v_add_f64 v[56:57], v[0:1], -v[4:5]
	v_add_f64 v[58:59], v[2:3], -v[6:7]
	v_fmac_f64_e32 v[12:13], v[120:121], v[72:73]
	v_fma_f64 v[14:15], v[120:121], v[74:75], -v[14:15]
	v_fmac_f64_e32 v[20:21], v[124:125], v[80:81]
	v_fma_f64 v[22:23], v[124:125], v[82:83], -v[22:23]
	v_fma_f64 v[0:1], v[0:1], 2.0, -v[56:57]
	v_fma_f64 v[2:3], v[2:3], 2.0, -v[58:59]
	v_add_f64 v[64:65], v[60:61], -v[8:9]
	v_add_f64 v[66:67], v[62:63], -v[10:11]
	v_fmac_f64_e32 v[100:101], v[128:129], v[88:89]
	v_fma_f64 v[60:61], v[60:61], 2.0, -v[64:65]
	v_fma_f64 v[62:63], v[62:63], 2.0, -v[66:67]
	v_add_f64 v[72:73], v[68:69], -v[12:13]
	v_add_f64 v[74:75], v[70:71], -v[14:15]
	;; [unrolled: 1-line block ×4, first 2 shown]
	s_waitcnt lgkmcnt(0)
	; wave barrier
	ds_write_b128 v16, v[0:3]
	ds_write_b128 v16, v[56:59] offset:448
	v_accvgpr_read_b32 v0, a46
	v_fmac_f64_e32 v[102:103], v[132:133], v[96:97]
	v_fma_f64 v[68:69], v[68:69], 2.0, -v[72:73]
	v_fma_f64 v[70:71], v[70:71], 2.0, -v[74:75]
	;; [unrolled: 1-line block ×4, first 2 shown]
	v_add_f64 v[88:89], v[84:85], -v[100:101]
	v_add_f64 v[90:91], v[86:87], -v[90:91]
	ds_write_b128 v0, v[60:63]
	ds_write_b128 v0, v[64:67] offset:448
	ds_write_b128 v16, v[68:71] offset:960
	;; [unrolled: 1-line block ×3, first 2 shown]
	v_accvgpr_read_b32 v0, a42
	v_fma_f64 v[84:85], v[84:85], 2.0, -v[88:89]
	v_fma_f64 v[86:87], v[86:87], 2.0, -v[90:91]
	v_add_f64 v[96:97], v[92:93], -v[102:103]
	v_add_f64 v[98:99], v[94:95], -v[98:99]
	ds_write_b128 v0, v[76:79]
	ds_write_b128 v0, v[80:83] offset:448
	v_accvgpr_read_b32 v0, a43
	v_fma_f64 v[92:93], v[92:93], 2.0, -v[96:97]
	v_fma_f64 v[94:95], v[94:95], 2.0, -v[98:99]
	v_add_f64 v[100:101], v[104:105], -v[112:113]
	v_add_f64 v[102:103], v[106:107], -v[108:109]
	ds_write_b128 v0, v[84:87] offset:1792
	ds_write_b128 v0, v[88:91] offset:2240
	v_accvgpr_read_b32 v0, a44
	v_fma_f64 v[104:105], v[104:105], 2.0, -v[100:101]
	v_fma_f64 v[106:107], v[106:107], 2.0, -v[102:103]
	ds_write_b128 v0, v[92:95]
	ds_write_b128 v0, v[96:99] offset:448
	v_accvgpr_read_b32 v0, a45
	ds_write_b128 v0, v[104:107] offset:2688
	ds_write_b128 v0, v[100:103] offset:3136
	s_waitcnt lgkmcnt(0)
	; wave barrier
	s_waitcnt lgkmcnt(0)
	ds_read_b128 v[0:3], v16
	ds_read_b128 v[56:59], v18 offset:1792
	ds_read_b128 v[60:63], v18 offset:256
	;; [unrolled: 1-line block ×13, first 2 shown]
	s_waitcnt lgkmcnt(12)
	v_mul_f64 v[4:5], v[142:143], v[58:59]
	v_fmac_f64_e32 v[4:5], v[140:141], v[56:57]
	v_mul_f64 v[6:7], v[142:143], v[56:57]
	s_waitcnt lgkmcnt(4)
	v_mul_f64 v[56:57], v[158:159], v[88:89]
	v_mul_f64 v[108:109], v[158:159], v[90:91]
	v_fma_f64 v[90:91], v[156:157], v[90:91], -v[56:57]
	s_waitcnt lgkmcnt(2)
	v_mul_f64 v[56:57], v[162:163], v[96:97]
	v_mul_f64 v[8:9], v[146:147], v[66:67]
	;; [unrolled: 1-line block ×8, first 2 shown]
	v_fma_f64 v[98:99], v[160:161], v[98:99], -v[56:57]
	s_waitcnt lgkmcnt(0)
	v_mul_f64 v[112:113], v[166:167], v[106:107]
	v_mul_f64 v[56:57], v[166:167], v[104:105]
	v_fma_f64 v[6:7], v[140:141], v[58:59], -v[6:7]
	v_fmac_f64_e32 v[8:9], v[144:145], v[64:65]
	v_fma_f64 v[10:11], v[144:145], v[66:67], -v[10:11]
	v_fmac_f64_e32 v[12:13], v[148:149], v[72:73]
	v_fma_f64 v[14:15], v[148:149], v[74:75], -v[14:15]
	v_fmac_f64_e32 v[20:21], v[152:153], v[80:81]
	v_fma_f64 v[22:23], v[152:153], v[82:83], -v[22:23]
	v_fmac_f64_e32 v[108:109], v[156:157], v[88:89]
	v_fmac_f64_e32 v[110:111], v[160:161], v[96:97]
	v_fmac_f64_e32 v[112:113], v[164:165], v[104:105]
	v_fma_f64 v[106:107], v[164:165], v[106:107], -v[56:57]
	v_add_f64 v[56:57], v[0:1], -v[4:5]
	v_add_f64 v[58:59], v[2:3], -v[6:7]
	;; [unrolled: 1-line block ×14, first 2 shown]
	v_fma_f64 v[0:1], v[0:1], 2.0, -v[56:57]
	v_fma_f64 v[2:3], v[2:3], 2.0, -v[58:59]
	;; [unrolled: 1-line block ×14, first 2 shown]
	s_waitcnt lgkmcnt(0)
	; wave barrier
	ds_write_b128 v16, v[0:3]
	ds_write_b128 v16, v[56:59] offset:896
	ds_write_b128 v18, v[60:63] offset:256
	;; [unrolled: 1-line block ×5, first 2 shown]
	ds_write_b128 v255, v[76:79]
	ds_write_b128 v255, v[80:83] offset:896
	ds_write_b128 v16, v[84:87] offset:1920
	;; [unrolled: 1-line block ×7, first 2 shown]
	s_waitcnt lgkmcnt(0)
	; wave barrier
	s_waitcnt lgkmcnt(0)
	ds_read_b128 v[0:3], v16
	ds_read_b128 v[56:59], v18 offset:1792
	ds_read_b128 v[60:63], v18 offset:256
	;; [unrolled: 1-line block ×13, first 2 shown]
	s_waitcnt lgkmcnt(12)
	v_mul_f64 v[4:5], v[170:171], v[58:59]
	v_fmac_f64_e32 v[4:5], v[168:169], v[56:57]
	v_mul_f64 v[6:7], v[170:171], v[56:57]
	s_waitcnt lgkmcnt(4)
	v_mul_f64 v[56:57], v[186:187], v[88:89]
	v_mul_f64 v[108:109], v[186:187], v[90:91]
	v_fma_f64 v[90:91], v[184:185], v[90:91], -v[56:57]
	s_waitcnt lgkmcnt(2)
	v_mul_f64 v[56:57], v[190:191], v[96:97]
	v_fma_f64 v[6:7], v[168:169], v[58:59], -v[6:7]
	v_mul_f64 v[8:9], v[174:175], v[66:67]
	v_mul_f64 v[10:11], v[174:175], v[64:65]
	;; [unrolled: 1-line block ×7, first 2 shown]
	v_fma_f64 v[98:99], v[188:189], v[98:99], -v[56:57]
	s_waitcnt lgkmcnt(0)
	v_mul_f64 v[112:113], v[194:195], v[106:107]
	v_mul_f64 v[56:57], v[194:195], v[104:105]
	v_fmac_f64_e32 v[8:9], v[172:173], v[64:65]
	v_fma_f64 v[10:11], v[172:173], v[66:67], -v[10:11]
	v_fmac_f64_e32 v[12:13], v[176:177], v[72:73]
	v_fma_f64 v[14:15], v[176:177], v[74:75], -v[14:15]
	v_fmac_f64_e32 v[20:21], v[180:181], v[80:81]
	v_fma_f64 v[22:23], v[180:181], v[82:83], -v[22:23]
	v_fmac_f64_e32 v[108:109], v[184:185], v[88:89]
	v_fmac_f64_e32 v[110:111], v[188:189], v[96:97]
	;; [unrolled: 1-line block ×3, first 2 shown]
	v_fma_f64 v[106:107], v[192:193], v[106:107], -v[56:57]
	v_add_f64 v[56:57], v[0:1], -v[4:5]
	v_add_f64 v[58:59], v[2:3], -v[6:7]
	v_fma_f64 v[0:1], v[0:1], 2.0, -v[56:57]
	v_fma_f64 v[2:3], v[2:3], 2.0, -v[58:59]
	v_add_f64 v[64:65], v[60:61], -v[8:9]
	v_add_f64 v[66:67], v[62:63], -v[10:11]
	;; [unrolled: 1-line block ×12, first 2 shown]
	v_fma_f64 v[60:61], v[60:61], 2.0, -v[64:65]
	v_fma_f64 v[62:63], v[62:63], 2.0, -v[66:67]
	;; [unrolled: 1-line block ×12, first 2 shown]
	ds_write_b128 v16, v[0:3]
	ds_write_b128 v18, v[56:59] offset:1792
	ds_write_b128 v18, v[60:63] offset:256
	;; [unrolled: 1-line block ×13, first 2 shown]
	s_waitcnt lgkmcnt(0)
	; wave barrier
	s_waitcnt lgkmcnt(0)
	ds_read_b128 v[0:3], v16
	v_accvgpr_read_b32 v8, a20
	v_accvgpr_read_b32 v10, a22
	;; [unrolled: 1-line block ×4, first 2 shown]
	s_waitcnt lgkmcnt(0)
	v_mul_f64 v[4:5], v[30:31], v[2:3]
	v_fmac_f64_e32 v[4:5], v[28:29], v[0:1]
	v_mul_f64 v[0:1], v[30:31], v[0:1]
	v_fma_f64 v[0:1], v[28:29], v[2:3], -v[0:1]
	v_mul_f64 v[58:59], v[0:1], s[2:3]
	v_mad_u64_u32 v[0:1], s[4:5], s0, v254, 0
	v_mov_b32_e32 v2, v1
	v_mad_u64_u32 v[2:3], s[4:5], s1, v254, v[2:3]
	v_mul_f64 v[56:57], v[4:5], s[2:3]
	v_mov_b32_e32 v1, v2
	v_accvgpr_read_b32 v3, a1
	v_accvgpr_read_b32 v4, a14
	;; [unrolled: 1-line block ×4, first 2 shown]
	v_lshl_add_u64 v[2:3], v[4:5], 4, v[2:3]
	v_lshl_add_u64 v[4:5], v[0:1], 4, v[2:3]
	ds_read_b128 v[0:3], v18 offset:512
	s_lshl_b64 s[4:5], s[0:1], 9
	global_store_dwordx4 v[4:5], v[56:59], off
	v_lshl_add_u64 v[4:5], v[4:5], 0, s[4:5]
	s_mulk_i32 s1, 0xf500
	s_waitcnt lgkmcnt(0)
	v_mul_f64 v[6:7], v[34:35], v[2:3]
	v_fmac_f64_e32 v[6:7], v[32:33], v[0:1]
	v_mul_f64 v[0:1], v[34:35], v[0:1]
	v_fma_f64 v[0:1], v[32:33], v[2:3], -v[0:1]
	v_mul_f64 v[30:31], v[0:1], s[2:3]
	ds_read_b128 v[0:3], v18 offset:1024
	v_mul_f64 v[28:29], v[6:7], s[2:3]
	global_store_dwordx4 v[4:5], v[28:31], off
	v_lshl_add_u64 v[4:5], v[4:5], 0, s[4:5]
	s_waitcnt lgkmcnt(0)
	v_mul_f64 v[6:7], v[38:39], v[2:3]
	v_fmac_f64_e32 v[6:7], v[36:37], v[0:1]
	v_mul_f64 v[0:1], v[38:39], v[0:1]
	v_fma_f64 v[0:1], v[36:37], v[2:3], -v[0:1]
	v_mul_f64 v[30:31], v[0:1], s[2:3]
	ds_read_b128 v[0:3], v18 offset:1536
	v_mul_f64 v[28:29], v[6:7], s[2:3]
	global_store_dwordx4 v[4:5], v[28:31], off
	v_lshl_add_u64 v[4:5], v[4:5], 0, s[4:5]
	;; [unrolled: 10-line block ×4, first 2 shown]
	s_waitcnt lgkmcnt(0)
	v_mul_f64 v[6:7], v[50:51], v[2:3]
	v_fmac_f64_e32 v[6:7], v[48:49], v[0:1]
	v_mul_f64 v[0:1], v[50:51], v[0:1]
	v_fma_f64 v[0:1], v[48:49], v[2:3], -v[0:1]
	v_mul_f64 v[30:31], v[0:1], s[2:3]
	ds_read_b128 v[0:3], v18 offset:3072
	v_mul_f64 v[28:29], v[6:7], s[2:3]
	global_store_dwordx4 v[4:5], v[28:31], off
	s_waitcnt lgkmcnt(0)
	v_mul_f64 v[6:7], v[54:55], v[2:3]
	v_fmac_f64_e32 v[6:7], v[52:53], v[0:1]
	v_mul_f64 v[0:1], v[54:55], v[0:1]
	v_fma_f64 v[0:1], v[52:53], v[2:3], -v[0:1]
	v_mul_f64 v[32:33], v[0:1], s[2:3]
	ds_read_b128 v[0:3], v18 offset:256
	v_lshl_add_u64 v[28:29], v[4:5], 0, s[4:5]
	v_mul_f64 v[30:31], v[6:7], s[2:3]
	global_store_dwordx4 v[28:29], v[30:33], off
	s_waitcnt lgkmcnt(0)
	v_mul_f64 v[4:5], v[26:27], v[2:3]
	v_fmac_f64_e32 v[4:5], v[24:25], v[0:1]
	v_mul_f64 v[0:1], v[26:27], v[0:1]
	v_fma_f64 v[0:1], v[24:25], v[2:3], -v[0:1]
	v_mul_f64 v[32:33], v[0:1], s[2:3]
	v_mov_b32_e32 v0, 0xfffff500
	v_mul_f64 v[30:31], v[4:5], s[2:3]
	v_mad_u64_u32 v[4:5], s[6:7], s0, v0, v[28:29]
	ds_read_b128 v[0:3], v18 offset:768
	s_sub_i32 s0, s1, s0
	v_add_u32_e32 v5, s0, v5
	global_store_dwordx4 v[4:5], v[30:33], off
	v_lshl_add_u64 v[4:5], v[4:5], 0, s[4:5]
	s_waitcnt lgkmcnt(0)
	v_mul_f64 v[6:7], v[10:11], v[2:3]
	v_fmac_f64_e32 v[6:7], v[8:9], v[0:1]
	v_mul_f64 v[0:1], v[10:11], v[0:1]
	v_fma_f64 v[0:1], v[8:9], v[2:3], -v[0:1]
	v_mul_f64 v[26:27], v[0:1], s[2:3]
	ds_read_b128 v[0:3], v18 offset:1280
	v_accvgpr_read_b32 v8, a16
	v_accvgpr_read_b32 v10, a18
	;; [unrolled: 1-line block ×3, first 2 shown]
	v_mul_f64 v[24:25], v[6:7], s[2:3]
	v_accvgpr_read_b32 v9, a17
	s_waitcnt lgkmcnt(0)
	v_mul_f64 v[6:7], v[10:11], v[2:3]
	v_fmac_f64_e32 v[6:7], v[8:9], v[0:1]
	v_mul_f64 v[0:1], v[10:11], v[0:1]
	v_fma_f64 v[0:1], v[8:9], v[2:3], -v[0:1]
	v_mul_f64 v[16:17], v[0:1], s[2:3]
	ds_read_b128 v[0:3], v18 offset:1792
	v_accvgpr_read_b32 v8, a10
	v_accvgpr_read_b32 v10, a12
	;; [unrolled: 1-line block ×3, first 2 shown]
	v_mul_f64 v[14:15], v[6:7], s[2:3]
	v_accvgpr_read_b32 v9, a11
	s_waitcnt lgkmcnt(0)
	v_mul_f64 v[6:7], v[10:11], v[2:3]
	v_fmac_f64_e32 v[6:7], v[8:9], v[0:1]
	v_mul_f64 v[0:1], v[10:11], v[0:1]
	global_store_dwordx4 v[4:5], v[24:27], off
	v_lshl_add_u64 v[4:5], v[4:5], 0, s[4:5]
	v_fma_f64 v[0:1], v[8:9], v[2:3], -v[0:1]
	global_store_dwordx4 v[4:5], v[14:17], off
	v_accvgpr_read_b32 v11, a9
	v_accvgpr_read_b32 v10, a8
	v_mul_f64 v[16:17], v[0:1], s[2:3]
	ds_read_b128 v[0:3], v18 offset:2304
	v_mul_f64 v[14:15], v[6:7], s[2:3]
	v_accvgpr_read_b32 v9, a7
	v_accvgpr_read_b32 v8, a6
	v_lshl_add_u64 v[4:5], v[4:5], 0, s[4:5]
	s_waitcnt lgkmcnt(0)
	v_mul_f64 v[6:7], v[10:11], v[2:3]
	v_fmac_f64_e32 v[6:7], v[8:9], v[0:1]
	v_mul_f64 v[0:1], v[10:11], v[0:1]
	v_fma_f64 v[0:1], v[8:9], v[2:3], -v[0:1]
	global_store_dwordx4 v[4:5], v[14:17], off
	v_accvgpr_read_b32 v13, a5
	v_accvgpr_read_b32 v12, a4
	v_mul_f64 v[16:17], v[0:1], s[2:3]
	ds_read_b128 v[0:3], v18 offset:2816
	v_mul_f64 v[14:15], v[6:7], s[2:3]
	v_accvgpr_read_b32 v11, a3
	v_accvgpr_read_b32 v10, a2
	v_lshl_add_u64 v[4:5], v[4:5], 0, s[4:5]
	s_waitcnt lgkmcnt(0)
	v_mul_f64 v[6:7], v[12:13], v[2:3]
	v_fmac_f64_e32 v[6:7], v[10:11], v[0:1]
	v_mul_f64 v[0:1], v[12:13], v[0:1]
	v_fma_f64 v[0:1], v[10:11], v[2:3], -v[0:1]
	v_mul_f64 v[10:11], v[0:1], s[2:3]
	ds_read_b128 v[0:3], v18 offset:3328
	v_mul_f64 v[8:9], v[6:7], s[2:3]
	v_lshl_add_u64 v[12:13], v[4:5], 0, s[4:5]
	global_store_dwordx4 v[4:5], v[14:17], off
	global_store_dwordx4 v[12:13], v[8:11], off
	v_accvgpr_read_b32 v6, a24
	v_accvgpr_read_b32 v7, a25
	;; [unrolled: 1-line block ×4, first 2 shown]
	s_waitcnt lgkmcnt(0)
	v_mul_f64 v[4:5], v[8:9], v[2:3]
	v_fmac_f64_e32 v[4:5], v[6:7], v[0:1]
	v_mul_f64 v[0:1], v[8:9], v[0:1]
	v_fma_f64 v[0:1], v[6:7], v[2:3], -v[0:1]
	v_mul_f64 v[4:5], v[4:5], s[2:3]
	v_mul_f64 v[6:7], v[0:1], s[2:3]
	v_lshl_add_u64 v[0:1], v[12:13], 0, s[4:5]
	global_store_dwordx4 v[0:1], v[4:7], off
.LBB0_2:
	s_endpgm
	.section	.rodata,"a",@progbits
	.p2align	6, 0x0
	.amdhsa_kernel bluestein_single_back_len224_dim1_dp_op_CI_CI
		.amdhsa_group_segment_fixed_size 14336
		.amdhsa_private_segment_fixed_size 0
		.amdhsa_kernarg_size 104
		.amdhsa_user_sgpr_count 2
		.amdhsa_user_sgpr_dispatch_ptr 0
		.amdhsa_user_sgpr_queue_ptr 0
		.amdhsa_user_sgpr_kernarg_segment_ptr 1
		.amdhsa_user_sgpr_dispatch_id 0
		.amdhsa_user_sgpr_kernarg_preload_length 0
		.amdhsa_user_sgpr_kernarg_preload_offset 0
		.amdhsa_user_sgpr_private_segment_size 0
		.amdhsa_uses_dynamic_stack 0
		.amdhsa_enable_private_segment 0
		.amdhsa_system_sgpr_workgroup_id_x 1
		.amdhsa_system_sgpr_workgroup_id_y 0
		.amdhsa_system_sgpr_workgroup_id_z 0
		.amdhsa_system_sgpr_workgroup_info 0
		.amdhsa_system_vgpr_workitem_id 0
		.amdhsa_next_free_vgpr 303
		.amdhsa_next_free_sgpr 30
		.amdhsa_accum_offset 256
		.amdhsa_reserve_vcc 1
		.amdhsa_float_round_mode_32 0
		.amdhsa_float_round_mode_16_64 0
		.amdhsa_float_denorm_mode_32 3
		.amdhsa_float_denorm_mode_16_64 3
		.amdhsa_dx10_clamp 1
		.amdhsa_ieee_mode 1
		.amdhsa_fp16_overflow 0
		.amdhsa_tg_split 0
		.amdhsa_exception_fp_ieee_invalid_op 0
		.amdhsa_exception_fp_denorm_src 0
		.amdhsa_exception_fp_ieee_div_zero 0
		.amdhsa_exception_fp_ieee_overflow 0
		.amdhsa_exception_fp_ieee_underflow 0
		.amdhsa_exception_fp_ieee_inexact 0
		.amdhsa_exception_int_div_zero 0
	.end_amdhsa_kernel
	.text
.Lfunc_end0:
	.size	bluestein_single_back_len224_dim1_dp_op_CI_CI, .Lfunc_end0-bluestein_single_back_len224_dim1_dp_op_CI_CI
                                        ; -- End function
	.section	.AMDGPU.csdata,"",@progbits
; Kernel info:
; codeLenInByte = 14872
; NumSgprs: 36
; NumVgprs: 256
; NumAgprs: 47
; TotalNumVgprs: 303
; ScratchSize: 0
; MemoryBound: 0
; FloatMode: 240
; IeeeMode: 1
; LDSByteSize: 14336 bytes/workgroup (compile time only)
; SGPRBlocks: 4
; VGPRBlocks: 37
; NumSGPRsForWavesPerEU: 36
; NumVGPRsForWavesPerEU: 303
; AccumOffset: 256
; Occupancy: 1
; WaveLimiterHint : 1
; COMPUTE_PGM_RSRC2:SCRATCH_EN: 0
; COMPUTE_PGM_RSRC2:USER_SGPR: 2
; COMPUTE_PGM_RSRC2:TRAP_HANDLER: 0
; COMPUTE_PGM_RSRC2:TGID_X_EN: 1
; COMPUTE_PGM_RSRC2:TGID_Y_EN: 0
; COMPUTE_PGM_RSRC2:TGID_Z_EN: 0
; COMPUTE_PGM_RSRC2:TIDIG_COMP_CNT: 0
; COMPUTE_PGM_RSRC3_GFX90A:ACCUM_OFFSET: 63
; COMPUTE_PGM_RSRC3_GFX90A:TG_SPLIT: 0
	.text
	.p2alignl 6, 3212836864
	.fill 256, 4, 3212836864
	.type	__hip_cuid_7c8383d77ba8c230,@object ; @__hip_cuid_7c8383d77ba8c230
	.section	.bss,"aw",@nobits
	.globl	__hip_cuid_7c8383d77ba8c230
__hip_cuid_7c8383d77ba8c230:
	.byte	0                               ; 0x0
	.size	__hip_cuid_7c8383d77ba8c230, 1

	.ident	"AMD clang version 19.0.0git (https://github.com/RadeonOpenCompute/llvm-project roc-6.4.0 25133 c7fe45cf4b819c5991fe208aaa96edf142730f1d)"
	.section	".note.GNU-stack","",@progbits
	.addrsig
	.addrsig_sym __hip_cuid_7c8383d77ba8c230
	.amdgpu_metadata
---
amdhsa.kernels:
  - .agpr_count:     47
    .args:
      - .actual_access:  read_only
        .address_space:  global
        .offset:         0
        .size:           8
        .value_kind:     global_buffer
      - .actual_access:  read_only
        .address_space:  global
        .offset:         8
        .size:           8
        .value_kind:     global_buffer
      - .actual_access:  read_only
        .address_space:  global
        .offset:         16
        .size:           8
        .value_kind:     global_buffer
      - .actual_access:  read_only
        .address_space:  global
        .offset:         24
        .size:           8
        .value_kind:     global_buffer
      - .actual_access:  read_only
        .address_space:  global
        .offset:         32
        .size:           8
        .value_kind:     global_buffer
      - .offset:         40
        .size:           8
        .value_kind:     by_value
      - .address_space:  global
        .offset:         48
        .size:           8
        .value_kind:     global_buffer
      - .address_space:  global
        .offset:         56
        .size:           8
        .value_kind:     global_buffer
      - .address_space:  global
        .offset:         64
        .size:           8
        .value_kind:     global_buffer
      - .address_space:  global
        .offset:         72
        .size:           8
        .value_kind:     global_buffer
      - .offset:         80
        .size:           4
        .value_kind:     by_value
      - .address_space:  global
        .offset:         88
        .size:           8
        .value_kind:     global_buffer
      - .address_space:  global
        .offset:         96
        .size:           8
        .value_kind:     global_buffer
    .group_segment_fixed_size: 14336
    .kernarg_segment_align: 8
    .kernarg_segment_size: 104
    .language:       OpenCL C
    .language_version:
      - 2
      - 0
    .max_flat_workgroup_size: 64
    .name:           bluestein_single_back_len224_dim1_dp_op_CI_CI
    .private_segment_fixed_size: 0
    .sgpr_count:     36
    .sgpr_spill_count: 0
    .symbol:         bluestein_single_back_len224_dim1_dp_op_CI_CI.kd
    .uniform_work_group_size: 1
    .uses_dynamic_stack: false
    .vgpr_count:     303
    .vgpr_spill_count: 0
    .wavefront_size: 64
amdhsa.target:   amdgcn-amd-amdhsa--gfx950
amdhsa.version:
  - 1
  - 2
...

	.end_amdgpu_metadata
